;; amdgpu-corpus repo=ROCm/rocFFT kind=compiled arch=gfx1201 opt=O3
	.text
	.amdgcn_target "amdgcn-amd-amdhsa--gfx1201"
	.amdhsa_code_object_version 6
	.protected	fft_rtc_fwd_len128_factors_2_4_4_4_wgs_128_tpt_4_dim2_sp_ip_CI_sbcc_twdbase8_2step_dirReg ; -- Begin function fft_rtc_fwd_len128_factors_2_4_4_4_wgs_128_tpt_4_dim2_sp_ip_CI_sbcc_twdbase8_2step_dirReg
	.globl	fft_rtc_fwd_len128_factors_2_4_4_4_wgs_128_tpt_4_dim2_sp_ip_CI_sbcc_twdbase8_2step_dirReg
	.p2align	8
	.type	fft_rtc_fwd_len128_factors_2_4_4_4_wgs_128_tpt_4_dim2_sp_ip_CI_sbcc_twdbase8_2step_dirReg,@function
fft_rtc_fwd_len128_factors_2_4_4_4_wgs_128_tpt_4_dim2_sp_ip_CI_sbcc_twdbase8_2step_dirReg: ; @fft_rtc_fwd_len128_factors_2_4_4_4_wgs_128_tpt_4_dim2_sp_ip_CI_sbcc_twdbase8_2step_dirReg
; %bb.0:
	s_load_b128 s[4:7], s[0:1], 0x10
	s_mov_b32 s14, ttmp9
	s_mov_b32 s15, 0
	s_mov_b64 s[18:19], 0
	s_wait_kmcnt 0x0
	s_load_b64 s[12:13], s[4:5], 0x8
	s_load_b64 s[2:3], s[6:7], 0x0
	s_wait_kmcnt 0x0
	s_add_nc_u64 s[4:5], s[12:13], -1
	s_delay_alu instid0(SALU_CYCLE_1) | instskip(NEXT) | instid1(SALU_CYCLE_1)
	s_lshr_b64 s[4:5], s[4:5], 5
	s_add_nc_u64 s[16:17], s[4:5], 1
	s_delay_alu instid0(SALU_CYCLE_1) | instskip(NEXT) | instid1(VALU_DEP_1)
	v_cmp_lt_u64_e64 s4, s[14:15], s[16:17]
	s_and_b32 vcc_lo, exec_lo, s4
	s_cbranch_vccnz .LBB0_2
; %bb.1:
	v_cvt_f32_u32_e32 v1, s16
	s_sub_co_i32 s5, 0, s16
	s_mov_b32 s19, s15
	s_delay_alu instid0(VALU_DEP_1) | instskip(NEXT) | instid1(TRANS32_DEP_1)
	v_rcp_iflag_f32_e32 v1, v1
	v_mul_f32_e32 v1, 0x4f7ffffe, v1
	s_delay_alu instid0(VALU_DEP_1) | instskip(NEXT) | instid1(VALU_DEP_1)
	v_cvt_u32_f32_e32 v1, v1
	v_readfirstlane_b32 s4, v1
	s_delay_alu instid0(VALU_DEP_1) | instskip(NEXT) | instid1(SALU_CYCLE_1)
	s_mul_i32 s5, s5, s4
	s_mul_hi_u32 s5, s4, s5
	s_delay_alu instid0(SALU_CYCLE_1) | instskip(NEXT) | instid1(SALU_CYCLE_1)
	s_add_co_i32 s4, s4, s5
	s_mul_hi_u32 s4, s14, s4
	s_delay_alu instid0(SALU_CYCLE_1) | instskip(SKIP_2) | instid1(SALU_CYCLE_1)
	s_mul_i32 s5, s4, s16
	s_add_co_i32 s8, s4, 1
	s_sub_co_i32 s5, s14, s5
	s_sub_co_i32 s9, s5, s16
	s_cmp_ge_u32 s5, s16
	s_cselect_b32 s4, s8, s4
	s_cselect_b32 s5, s9, s5
	s_add_co_i32 s8, s4, 1
	s_cmp_ge_u32 s5, s16
	s_cselect_b32 s18, s8, s4
.LBB0_2:
	s_load_b128 s[4:7], s[6:7], 0x8
	s_clause 0x1
	s_load_b64 s[10:11], s[0:1], 0x0
	s_load_b64 s[8:9], s[0:1], 0x50
	s_mul_u64 s[16:17], s[18:19], s[16:17]
	v_lshrrev_b32_e32 v77, 5, v0
	s_wait_alu 0xfffe
	s_sub_nc_u64 s[14:15], s[14:15], s[16:17]
	s_wait_alu 0xfffe
	s_lshl_b64 s[16:17], s[14:15], 5
	s_wait_alu 0xfffe
	v_dual_mov_b32 v23, s17 :: v_dual_and_b32 v76, 31, v0
	s_add_nc_u64 s[14:15], s[16:17], 32
	s_wait_alu 0xfffe
	v_cmp_gt_u64_e64 s20, s[14:15], s[12:13]
	v_cmp_le_u64_e64 s14, s[14:15], s[12:13]
	v_or_b32_e32 v22, s16, v76
	s_delay_alu instid0(VALU_DEP_3)
	s_and_b32 vcc_lo, exec_lo, s20
	s_wait_kmcnt 0x0
	s_mul_u64 s[16:17], s[16:17], s[4:5]
	s_mul_u64 s[6:7], s[6:7], s[18:19]
	s_wait_alu 0xfffe
	s_add_nc_u64 s[6:7], s[6:7], s[16:17]
	s_cbranch_vccz .LBB0_8
; %bb.3:
	s_mov_b32 s15, exec_lo
                                        ; implicit-def: $vgpr78
                                        ; implicit-def: $vgpr80
                                        ; implicit-def: $vgpr81
                                        ; implicit-def: $vgpr82
                                        ; implicit-def: $vgpr83
                                        ; implicit-def: $vgpr84
                                        ; implicit-def: $vgpr85
                                        ; implicit-def: $vgpr79
                                        ; implicit-def: $vgpr20_vgpr21
                                        ; implicit-def: $vgpr24_vgpr25
	v_cmpx_le_u64_e64 s[12:13], v[22:23]
	s_wait_alu 0xfffe
	s_xor_b32 s15, exec_lo, s15
                                        ; implicit-def: $vgpr26_vgpr27
                                        ; implicit-def: $vgpr28_vgpr29
	s_cbranch_execz .LBB0_5
; %bb.4:
	v_mov_b32_e32 v29, 0
	v_or_b32_e32 v78, 4, v77
	v_or_b32_e32 v80, 8, v77
	;; [unrolled: 1-line block ×8, first 2 shown]
	v_mov_b32_e32 v27, v29
	v_or_b32_e32 v20, 64, v77
	v_mov_b32_e32 v21, v29
	v_or_b32_e32 v24, 0x60, v77
	v_mov_b32_e32 v25, v29
.LBB0_5:
	s_wait_alu 0xfffe
	s_or_saveexec_b32 s15, s15
                                        ; implicit-def: $vgpr1
                                        ; implicit-def: $vgpr9
                                        ; implicit-def: $vgpr17
                                        ; implicit-def: $vgpr36
                                        ; implicit-def: $vgpr44
                                        ; implicit-def: $vgpr52
                                        ; implicit-def: $vgpr66
                                        ; implicit-def: $vgpr64
                                        ; implicit-def: $vgpr60
                                        ; implicit-def: $vgpr68
                                        ; implicit-def: $vgpr62
                                        ; implicit-def: $vgpr70
                                        ; implicit-def: $vgpr74
                                        ; implicit-def: $vgpr72
                                        ; implicit-def: $vgpr54
                                        ; implicit-def: $vgpr58
                                        ; implicit-def: $vgpr56
                                        ; implicit-def: $vgpr46
                                        ; implicit-def: $vgpr50
                                        ; implicit-def: $vgpr48
                                        ; implicit-def: $vgpr38
                                        ; implicit-def: $vgpr42
                                        ; implicit-def: $vgpr40
                                        ; implicit-def: $vgpr30
                                        ; implicit-def: $vgpr34
                                        ; implicit-def: $vgpr32
                                        ; implicit-def: $vgpr11
                                        ; implicit-def: $vgpr15
                                        ; implicit-def: $vgpr13
                                        ; implicit-def: $vgpr3
                                        ; implicit-def: $vgpr7
                                        ; implicit-def: $vgpr5
	s_wait_alu 0xfffe
	s_xor_b32 exec_lo, exec_lo, s15
	s_cbranch_execz .LBB0_7
; %bb.6:
	v_mad_co_u64_u32 v[1:2], null, s4, v76, 0
	v_mad_co_u64_u32 v[3:4], null, s2, v77, 0
	v_or_b32_e32 v20, 64, v77
	v_or_b32_e32 v78, 4, v77
	;; [unrolled: 1-line block ×3, first 2 shown]
	s_lshl_b64 s[16:17], s[6:7], 3
	v_or_b32_e32 v80, 8, v77
	v_mad_co_u64_u32 v[5:6], null, s2, v20, 0
	v_mad_co_u64_u32 v[7:8], null, s5, v76, v[2:3]
	v_mov_b32_e32 v2, v4
	v_mad_co_u64_u32 v[8:9], null, s2, v78, 0
	s_wait_alu 0xfffe
	s_add_nc_u64 s[16:17], s[8:9], s[16:17]
	s_delay_alu instid0(VALU_DEP_4) | instskip(SKIP_3) | instid1(VALU_DEP_4)
	v_mov_b32_e32 v4, v6
	v_mad_co_u64_u32 v[10:11], null, s3, v77, v[2:3]
	v_mov_b32_e32 v2, v7
	v_mad_co_u64_u32 v[11:12], null, s2, v15, 0
	v_mad_co_u64_u32 v[6:7], null, s3, v20, v[4:5]
	v_mov_b32_e32 v4, v9
	s_delay_alu instid0(VALU_DEP_4)
	v_lshlrev_b64_e32 v[1:2], 3, v[1:2]
	v_or_b32_e32 v81, 12, v77
	v_or_b32_e32 v28, 0x4c, v77
	;; [unrolled: 1-line block ×3, first 2 shown]
	v_mad_co_u64_u32 v[13:14], null, s3, v78, v[4:5]
	v_mov_b32_e32 v4, v10
	s_wait_alu 0xfffe
	v_add_co_u32 v19, vcc_lo, s16, v1
	v_add_co_ci_u32_e32 v21, vcc_lo, s17, v2, vcc_lo
	s_delay_alu instid0(VALU_DEP_3)
	v_lshlrev_b64_e32 v[1:2], 3, v[3:4]
	v_lshlrev_b64_e32 v[4:5], 3, v[5:6]
	v_mov_b32_e32 v3, v12
	v_mov_b32_e32 v9, v13
	v_mad_co_u64_u32 v[13:14], null, s2, v80, 0
	v_add_co_u32 v1, vcc_lo, v19, v1
	s_delay_alu instid0(VALU_DEP_4) | instskip(NEXT) | instid1(VALU_DEP_4)
	v_mad_co_u64_u32 v[6:7], null, s3, v15, v[3:4]
	v_lshlrev_b64_e32 v[7:8], 3, v[8:9]
	s_wait_alu 0xfffd
	v_add_co_ci_u32_e32 v2, vcc_lo, v21, v2, vcc_lo
	v_add_co_u32 v3, vcc_lo, v19, v4
	s_wait_alu 0xfffd
	v_add_co_ci_u32_e32 v4, vcc_lo, v21, v5, vcc_lo
	v_mov_b32_e32 v12, v6
	v_add_co_u32 v9, vcc_lo, v19, v7
	v_mov_b32_e32 v5, v14
	s_wait_alu 0xfffd
	v_add_co_ci_u32_e32 v10, vcc_lo, v21, v8, vcc_lo
	v_lshlrev_b64_e32 v[6:7], 3, v[11:12]
	v_or_b32_e32 v8, 0x48, v77
	v_mad_co_u64_u32 v[24:25], null, s2, v28, 0
	v_or_b32_e32 v32, 0x50, v77
	v_or_b32_e32 v83, 20, v77
	v_mad_co_u64_u32 v[11:12], null, s3, v80, v[5:6]
	v_mad_co_u64_u32 v[15:16], null, s2, v8, 0
	v_add_co_u32 v17, vcc_lo, v19, v6
	s_wait_alu 0xfffd
	v_add_co_ci_u32_e32 v18, vcc_lo, v21, v7, vcc_lo
	s_delay_alu instid0(VALU_DEP_4)
	v_mov_b32_e32 v14, v11
	v_mad_co_u64_u32 v[11:12], null, s2, v81, 0
	v_mov_b32_e32 v5, v16
	v_or_b32_e32 v35, 0x58, v77
	v_or_b32_e32 v84, 24, v77
	;; [unrolled: 1-line block ×4, first 2 shown]
	v_mad_co_u64_u32 v[26:27], null, s3, v8, v[5:6]
	s_clause 0x3
	global_load_b64 v[5:6], v[1:2], off
	global_load_b64 v[7:8], v[3:4], off
	;; [unrolled: 1-line block ×4, first 2 shown]
	v_dual_mov_b32 v9, v12 :: v_dual_mov_b32 v10, v25
	v_lshlrev_b64_e32 v[12:13], 3, v[13:14]
	v_mad_co_u64_u32 v[38:39], null, s2, v35, 0
	v_mov_b32_e32 v16, v26
	s_delay_alu instid0(VALU_DEP_4)
	v_mad_co_u64_u32 v[17:18], null, s3, v81, v[9:10]
	v_mad_co_u64_u32 v[9:10], null, s3, v28, v[10:11]
	v_add_co_u32 v26, vcc_lo, v19, v12
	s_wait_alu 0xfffd
	v_add_co_ci_u32_e32 v27, vcc_lo, v21, v13, vcc_lo
	v_lshlrev_b64_e32 v[13:14], 3, v[15:16]
	v_mov_b32_e32 v12, v17
	v_mad_co_u64_u32 v[17:18], null, s2, v82, 0
	v_mov_b32_e32 v25, v9
	v_mad_co_u64_u32 v[28:29], null, s2, v83, 0
	v_add_co_u32 v9, vcc_lo, v19, v13
	s_wait_alu 0xfffd
	v_add_co_ci_u32_e32 v10, vcc_lo, v21, v14, vcc_lo
	v_lshlrev_b64_e32 v[11:12], 3, v[11:12]
	v_lshlrev_b64_e32 v[13:14], 3, v[24:25]
	v_mad_co_u64_u32 v[24:25], null, s2, v32, 0
	v_mov_b32_e32 v15, v18
	v_mad_co_u64_u32 v[36:37], null, s2, v84, 0
	v_add_co_u32 v11, vcc_lo, v19, v11
	s_delay_alu instid0(VALU_DEP_3)
	v_mad_co_u64_u32 v[15:16], null, s3, v82, v[15:16]
	s_wait_alu 0xfffd
	v_add_co_ci_u32_e32 v12, vcc_lo, v21, v12, vcc_lo
	v_mov_b32_e32 v16, v25
	v_add_co_u32 v30, vcc_lo, v19, v13
	v_mov_b32_e32 v13, v29
	s_wait_alu 0xfffd
	v_add_co_ci_u32_e32 v31, vcc_lo, v21, v14, vcc_lo
	v_mad_co_u64_u32 v[32:33], null, s3, v32, v[16:17]
	s_delay_alu instid0(VALU_DEP_3)
	v_mad_co_u64_u32 v[33:34], null, s3, v83, v[13:14]
	v_or_b32_e32 v34, 0x54, v77
	v_mov_b32_e32 v18, v15
	s_clause 0x3
	global_load_b64 v[13:14], v[26:27], off
	global_load_b64 v[15:16], v[9:10], off
	;; [unrolled: 1-line block ×4, first 2 shown]
	v_mad_co_u64_u32 v[40:41], null, s2, v85, 0
	v_mad_co_u64_u32 v[26:27], null, s2, v34, 0
	v_mov_b32_e32 v29, v33
	v_mov_b32_e32 v25, v32
	v_mad_co_u64_u32 v[42:43], null, s2, v44, 0
	v_or_b32_e32 v79, 32, v77
	s_delay_alu instid0(VALU_DEP_4) | instskip(NEXT) | instid1(VALU_DEP_4)
	v_lshlrev_b64_e32 v[28:29], 3, v[28:29]
	v_lshlrev_b64_e32 v[24:25], 3, v[24:25]
	v_or_b32_e32 v53, 36, v77
	v_or_b32_e32 v54, 0x64, v77
	;; [unrolled: 1-line block ×4, first 2 shown]
	v_mad_co_u64_u32 v[30:31], null, s3, v34, v[27:28]
	v_mov_b32_e32 v31, v39
	v_lshlrev_b64_e32 v[17:18], 3, v[17:18]
	v_mad_co_u64_u32 v[48:49], null, s2, v53, 0
	v_or_b32_e32 v86, 0x7c, v77
	v_dual_mov_b32 v27, v30 :: v_dual_mov_b32 v30, v37
	s_delay_alu instid0(VALU_DEP_4) | instskip(SKIP_2) | instid1(VALU_DEP_3)
	v_add_co_u32 v17, vcc_lo, v19, v17
	s_wait_alu 0xfffd
	v_add_co_ci_u32_e32 v18, vcc_lo, v21, v18, vcc_lo
	v_mad_co_u64_u32 v[32:33], null, s3, v84, v[30:31]
	v_add_co_u32 v24, vcc_lo, v19, v24
	v_lshlrev_b64_e32 v[26:27], 3, v[26:27]
	s_wait_alu 0xfffd
	v_add_co_ci_u32_e32 v25, vcc_lo, v21, v25, vcc_lo
	v_add_co_u32 v28, vcc_lo, v19, v28
	v_mov_b32_e32 v37, v32
	v_mad_co_u64_u32 v[30:31], null, s3, v35, v[31:32]
	s_wait_alu 0xfffd
	v_add_co_ci_u32_e32 v29, vcc_lo, v21, v29, vcc_lo
	v_add_co_u32 v26, vcc_lo, v19, v26
	s_wait_alu 0xfffd
	v_add_co_ci_u32_e32 v27, vcc_lo, v21, v27, vcc_lo
	s_delay_alu instid0(VALU_DEP_4)
	v_mov_b32_e32 v39, v30
	s_clause 0x3
	global_load_b64 v[32:33], v[17:18], off
	global_load_b64 v[34:35], v[24:25], off
	;; [unrolled: 1-line block ×4, first 2 shown]
	v_mov_b32_e32 v26, v41
	v_lshlrev_b64_e32 v[24:25], 3, v[36:37]
	v_mov_b32_e32 v29, v43
	v_lshlrev_b64_e32 v[27:28], 3, v[38:39]
	s_delay_alu instid0(VALU_DEP_1) | instskip(NEXT) | instid1(VALU_DEP_1)
	v_mad_co_u64_u32 v[36:37], null, s3, v85, v[26:27]
	v_mov_b32_e32 v41, v36
	s_wait_loadcnt 0x1
	v_mad_co_u64_u32 v[37:38], null, s3, v44, v[29:30]
	v_mad_co_u64_u32 v[44:45], null, s2, v79, 0
	v_add_co_u32 v38, vcc_lo, v19, v24
	v_or_b32_e32 v24, 0x60, v77
	s_wait_alu 0xfffd
	v_add_co_ci_u32_e32 v39, vcc_lo, v21, v25, vcc_lo
	v_add_co_u32 v25, vcc_lo, v19, v27
	s_wait_alu 0xfffd
	v_add_co_ci_u32_e32 v26, vcc_lo, v21, v28, vcc_lo
	v_lshlrev_b64_e32 v[28:29], 3, v[40:41]
	v_mad_co_u64_u32 v[46:47], null, s2, v24, 0
	v_mov_b32_e32 v27, v45
	v_mov_b32_e32 v43, v37
	s_delay_alu instid0(VALU_DEP_2)
	v_mad_co_u64_u32 v[40:41], null, s3, v79, v[27:28]
	v_add_co_u32 v27, vcc_lo, v19, v28
	s_wait_alu 0xfffd
	v_add_co_ci_u32_e32 v28, vcc_lo, v21, v29, vcc_lo
	v_mov_b32_e32 v29, v47
	v_lshlrev_b64_e32 v[36:37], 3, v[42:43]
	v_mov_b32_e32 v45, v40
	s_delay_alu instid0(VALU_DEP_3) | instskip(NEXT) | instid1(VALU_DEP_3)
	v_mad_co_u64_u32 v[50:51], null, s3, v24, v[29:30]
	v_add_co_u32 v36, vcc_lo, v19, v36
	s_wait_alu 0xfffd
	s_delay_alu instid0(VALU_DEP_4)
	v_add_co_ci_u32_e32 v37, vcc_lo, v21, v37, vcc_lo
	s_clause 0x3
	global_load_b64 v[40:41], v[38:39], off
	global_load_b64 v[42:43], v[25:26], off
	;; [unrolled: 1-line block ×4, first 2 shown]
	v_lshlrev_b64_e32 v[26:27], 3, v[44:45]
	v_mov_b32_e32 v25, v49
	v_mad_co_u64_u32 v[51:52], null, s2, v54, 0
	v_mov_b32_e32 v47, v50
	v_or_b32_e32 v50, 40, v77
	s_delay_alu instid0(VALU_DEP_4) | instskip(SKIP_1) | instid1(VALU_DEP_3)
	v_mad_co_u64_u32 v[28:29], null, s3, v53, v[25:26]
	v_add_co_u32 v26, vcc_lo, v19, v26
	v_mad_co_u64_u32 v[44:45], null, s2, v50, 0
	v_mov_b32_e32 v25, v52
	v_lshlrev_b64_e32 v[46:47], 3, v[46:47]
	v_mov_b32_e32 v49, v28
	s_wait_alu 0xfffd
	v_add_co_ci_u32_e32 v27, vcc_lo, v21, v27, vcc_lo
	v_mad_co_u64_u32 v[52:53], null, s3, v54, v[25:26]
	v_mov_b32_e32 v25, v45
	v_add_co_u32 v28, vcc_lo, v19, v46
	v_lshlrev_b64_e32 v[45:46], 3, v[48:49]
	s_wait_alu 0xfffd
	v_add_co_ci_u32_e32 v29, vcc_lo, v21, v47, vcc_lo
	v_mad_co_u64_u32 v[47:48], null, s3, v50, v[25:26]
	v_or_b32_e32 v50, 0x68, v77
	s_delay_alu instid0(VALU_DEP_4) | instskip(SKIP_2) | instid1(VALU_DEP_3)
	v_add_co_u32 v53, vcc_lo, v19, v45
	s_wait_alu 0xfffd
	v_add_co_ci_u32_e32 v54, vcc_lo, v21, v46, vcc_lo
	v_mad_co_u64_u32 v[55:56], null, s2, v50, 0
	v_or_b32_e32 v46, 44, v77
	v_mov_b32_e32 v45, v47
	v_lshlrev_b64_e32 v[48:49], 3, v[51:52]
	v_or_b32_e32 v52, 0x6c, v77
	s_delay_alu instid0(VALU_DEP_4)
	v_mad_co_u64_u32 v[57:58], null, s2, v46, 0
	v_mov_b32_e32 v25, v56
	v_lshlrev_b64_e32 v[61:62], 3, v[44:45]
	v_add_co_u32 v59, vcc_lo, v19, v48
	s_wait_alu 0xfffd
	v_add_co_ci_u32_e32 v60, vcc_lo, v21, v49, vcc_lo
	v_mad_co_u64_u32 v[63:64], null, s3, v50, v[25:26]
	v_mov_b32_e32 v44, v58
	v_add_co_u32 v25, vcc_lo, v19, v61
	s_delay_alu instid0(VALU_DEP_2)
	v_mad_co_u64_u32 v[64:65], null, s3, v46, v[44:45]
	v_mad_co_u64_u32 v[65:66], null, s2, v52, 0
	v_mov_b32_e32 v56, v63
	s_clause 0x3
	global_load_b64 v[48:49], v[26:27], off
	global_load_b64 v[50:51], v[28:29], off
	;; [unrolled: 1-line block ×4, first 2 shown]
	s_wait_alu 0xfffd
	v_add_co_ci_u32_e32 v26, vcc_lo, v21, v62, vcc_lo
	v_mov_b32_e32 v58, v64
	v_lshlrev_b64_e32 v[28:29], 3, v[55:56]
	v_or_b32_e32 v56, 48, v77
	v_mov_b32_e32 v27, v66
	s_delay_alu instid0(VALU_DEP_2) | instskip(NEXT) | instid1(VALU_DEP_2)
	v_mad_co_u64_u32 v[60:61], null, s2, v56, 0
	v_mad_co_u64_u32 v[52:53], null, s3, v52, v[27:28]
	v_add_co_u32 v27, vcc_lo, v19, v28
	v_lshlrev_b64_e32 v[53:54], 3, v[57:58]
	s_wait_alu 0xfffd
	v_add_co_ci_u32_e32 v28, vcc_lo, v21, v29, vcc_lo
	v_or_b32_e32 v58, 0x70, v77
	v_dual_mov_b32 v29, v61 :: v_dual_mov_b32 v66, v52
	s_delay_alu instid0(VALU_DEP_4) | instskip(NEXT) | instid1(VALU_DEP_3)
	v_add_co_u32 v52, vcc_lo, v19, v53
	v_mad_co_u64_u32 v[62:63], null, s2, v58, 0
	s_delay_alu instid0(VALU_DEP_3)
	v_mad_co_u64_u32 v[56:57], null, s3, v56, v[29:30]
	s_wait_alu 0xfffd
	v_add_co_ci_u32_e32 v53, vcc_lo, v21, v54, vcc_lo
	v_lshlrev_b64_e32 v[54:55], 3, v[65:66]
	v_mad_co_u64_u32 v[66:67], null, s2, v70, 0
	v_mov_b32_e32 v29, v63
	v_mov_b32_e32 v61, v56
	s_delay_alu instid0(VALU_DEP_4)
	v_add_co_u32 v64, vcc_lo, v19, v54
	s_wait_alu 0xfffd
	v_add_co_ci_u32_e32 v65, vcc_lo, v21, v55, vcc_lo
	v_mad_co_u64_u32 v[68:69], null, s3, v58, v[29:30]
	s_clause 0x3
	global_load_b64 v[56:57], v[25:26], off
	global_load_b64 v[58:59], v[27:28], off
	;; [unrolled: 1-line block ×4, first 2 shown]
	v_lshlrev_b64_e32 v[26:27], 3, v[60:61]
	v_mov_b32_e32 v25, v67
	v_or_b32_e32 v64, 0x74, v77
	v_mov_b32_e32 v63, v68
	s_delay_alu instid0(VALU_DEP_3) | instskip(NEXT) | instid1(VALU_DEP_3)
	v_mad_co_u64_u32 v[28:29], null, s3, v70, v[25:26]
	v_mad_co_u64_u32 v[60:61], null, s2, v64, 0
	v_or_b32_e32 v70, 56, v77
	v_add_co_u32 v25, vcc_lo, v19, v26
	s_wait_alu 0xfffd
	v_add_co_ci_u32_e32 v26, vcc_lo, v21, v27, vcc_lo
	v_mov_b32_e32 v67, v28
	v_mad_co_u64_u32 v[28:29], null, s2, v70, 0
	v_mov_b32_e32 v27, v61
	v_mad_co_u64_u32 v[68:69], null, s2, v73, 0
	v_lshlrev_b64_e32 v[62:63], 3, v[62:63]
	s_delay_alu instid0(VALU_DEP_3) | instskip(SKIP_4) | instid1(VALU_DEP_4)
	v_mad_co_u64_u32 v[64:65], null, s3, v64, v[27:28]
	v_mov_b32_e32 v27, v29
	v_lshlrev_b64_e32 v[65:66], 3, v[66:67]
	v_or_b32_e32 v67, 60, v77
	v_add_co_u32 v62, vcc_lo, v19, v62
	v_mad_co_u64_u32 v[70:71], null, s3, v70, v[27:28]
	v_mov_b32_e32 v27, v69
	s_delay_alu instid0(VALU_DEP_4) | instskip(SKIP_2) | instid1(VALU_DEP_3)
	v_mad_co_u64_u32 v[71:72], null, s2, v67, 0
	s_wait_alu 0xfffd
	v_add_co_ci_u32_e32 v63, vcc_lo, v21, v63, vcc_lo
	v_mad_co_u64_u32 v[73:74], null, s3, v73, v[27:28]
	v_mad_co_u64_u32 v[74:75], null, s2, v86, 0
	s_delay_alu instid0(VALU_DEP_4)
	v_mov_b32_e32 v27, v72
	v_mov_b32_e32 v29, v70
	;; [unrolled: 1-line block ×3, first 2 shown]
	v_add_co_u32 v64, vcc_lo, v19, v65
	s_wait_alu 0xfffd
	v_add_co_ci_u32_e32 v65, vcc_lo, v21, v66, vcc_lo
	v_mad_co_u64_u32 v[66:67], null, s3, v67, v[27:28]
	v_lshlrev_b64_e32 v[28:29], 3, v[28:29]
	v_mov_b32_e32 v27, v75
	v_lshlrev_b64_e32 v[60:61], 3, v[60:61]
	s_delay_alu instid0(VALU_DEP_4) | instskip(NEXT) | instid1(VALU_DEP_3)
	v_dual_mov_b32 v69, v73 :: v_dual_mov_b32 v72, v66
	v_mad_co_u64_u32 v[86:87], null, s3, v86, v[27:28]
	s_delay_alu instid0(VALU_DEP_3) | instskip(NEXT) | instid1(VALU_DEP_3)
	v_add_co_u32 v60, vcc_lo, v19, v60
	v_lshlrev_b64_e32 v[67:68], 3, v[68:69]
	s_wait_alu 0xfffd
	v_add_co_ci_u32_e32 v61, vcc_lo, v21, v61, vcc_lo
	v_add_co_u32 v27, vcc_lo, v19, v28
	v_mov_b32_e32 v75, v86
	v_lshlrev_b64_e32 v[69:70], 3, v[71:72]
	s_wait_alu 0xfffd
	v_add_co_ci_u32_e32 v28, vcc_lo, v21, v29, vcc_lo
	v_add_co_u32 v86, vcc_lo, v19, v67
	v_lshlrev_b64_e32 v[66:67], 3, v[74:75]
	s_wait_alu 0xfffd
	v_add_co_ci_u32_e32 v87, vcc_lo, v21, v68, vcc_lo
	v_add_co_u32 v88, vcc_lo, v19, v69
	s_wait_alu 0xfffd
	v_add_co_ci_u32_e32 v89, vcc_lo, v21, v70, vcc_lo
	v_add_co_u32 v90, vcc_lo, v19, v66
	s_wait_alu 0xfffd
	v_add_co_ci_u32_e32 v91, vcc_lo, v21, v67, vcc_lo
	s_clause 0x7
	global_load_b64 v[72:73], v[25:26], off
	global_load_b64 v[74:75], v[62:63], off
	;; [unrolled: 1-line block ×8, first 2 shown]
	v_mov_b32_e32 v29, 0
	s_delay_alu instid0(VALU_DEP_1)
	v_mov_b32_e32 v21, v29
	v_mov_b32_e32 v27, v29
	;; [unrolled: 1-line block ×3, first 2 shown]
.LBB0_7:
	s_or_b32 exec_lo, exec_lo, s15
	s_cbranch_execz .LBB0_9
	s_branch .LBB0_10
.LBB0_8:
                                        ; implicit-def: $vgpr1
                                        ; implicit-def: $vgpr9
                                        ; implicit-def: $vgpr17
                                        ; implicit-def: $vgpr36
                                        ; implicit-def: $vgpr44
                                        ; implicit-def: $vgpr52
                                        ; implicit-def: $vgpr66
                                        ; implicit-def: $vgpr64
                                        ; implicit-def: $vgpr60
                                        ; implicit-def: $vgpr68
                                        ; implicit-def: $vgpr62
                                        ; implicit-def: $vgpr70
                                        ; implicit-def: $vgpr74
                                        ; implicit-def: $vgpr72
                                        ; implicit-def: $vgpr54
                                        ; implicit-def: $vgpr58
                                        ; implicit-def: $vgpr56
                                        ; implicit-def: $vgpr46
                                        ; implicit-def: $vgpr50
                                        ; implicit-def: $vgpr48
                                        ; implicit-def: $vgpr38
                                        ; implicit-def: $vgpr42
                                        ; implicit-def: $vgpr40
                                        ; implicit-def: $vgpr30
                                        ; implicit-def: $vgpr34
                                        ; implicit-def: $vgpr32
                                        ; implicit-def: $vgpr11
                                        ; implicit-def: $vgpr15
                                        ; implicit-def: $vgpr13
                                        ; implicit-def: $vgpr3
                                        ; implicit-def: $vgpr7
                                        ; implicit-def: $vgpr5
                                        ; implicit-def: $vgpr78
                                        ; implicit-def: $vgpr80
                                        ; implicit-def: $vgpr81
                                        ; implicit-def: $vgpr82
                                        ; implicit-def: $vgpr83
                                        ; implicit-def: $vgpr84
                                        ; implicit-def: $vgpr85
                                        ; implicit-def: $vgpr79
                                        ; implicit-def: $vgpr20_vgpr21
                                        ; implicit-def: $vgpr24_vgpr25
                                        ; implicit-def: $vgpr26_vgpr27
                                        ; implicit-def: $vgpr28_vgpr29
.LBB0_9:
	v_mad_co_u64_u32 v[1:2], null, s4, v76, 0
	v_mad_co_u64_u32 v[3:4], null, s2, v77, 0
	v_or_b32_e32 v20, 64, v77
	v_or_b32_e32 v78, 4, v77
	;; [unrolled: 1-line block ×3, first 2 shown]
	s_lshl_b64 s[16:17], s[6:7], 3
	v_or_b32_e32 v80, 8, v77
	v_mad_co_u64_u32 v[5:6], null, s2, v20, 0
	v_mad_co_u64_u32 v[7:8], null, s5, v76, v[2:3]
	v_mov_b32_e32 v2, v4
	v_mad_co_u64_u32 v[8:9], null, s2, v78, 0
	s_wait_alu 0xfffe
	s_add_nc_u64 s[16:17], s[8:9], s[16:17]
	s_delay_alu instid0(VALU_DEP_4) | instskip(SKIP_3) | instid1(VALU_DEP_4)
	v_mov_b32_e32 v4, v6
	v_mad_co_u64_u32 v[10:11], null, s3, v77, v[2:3]
	v_mov_b32_e32 v2, v7
	v_mad_co_u64_u32 v[11:12], null, s2, v15, 0
	v_mad_co_u64_u32 v[6:7], null, s3, v20, v[4:5]
	v_mov_b32_e32 v4, v9
	s_delay_alu instid0(VALU_DEP_4)
	v_lshlrev_b64_e32 v[1:2], 3, v[1:2]
	v_or_b32_e32 v81, 12, v77
	v_or_b32_e32 v28, 0x4c, v77
	;; [unrolled: 1-line block ×3, first 2 shown]
	v_mad_co_u64_u32 v[13:14], null, s3, v78, v[4:5]
	v_mov_b32_e32 v4, v10
	s_wait_alu 0xfffe
	v_add_co_u32 v19, vcc_lo, s16, v1
	s_wait_alu 0xfffd
	v_add_co_ci_u32_e32 v21, vcc_lo, s17, v2, vcc_lo
	v_lshlrev_b64_e32 v[1:2], 3, v[3:4]
	v_lshlrev_b64_e32 v[4:5], 3, v[5:6]
	v_mov_b32_e32 v3, v12
	v_mov_b32_e32 v9, v13
	v_mad_co_u64_u32 v[13:14], null, s2, v80, 0
	v_add_co_u32 v1, vcc_lo, v19, v1
	s_delay_alu instid0(VALU_DEP_4) | instskip(NEXT) | instid1(VALU_DEP_4)
	v_mad_co_u64_u32 v[6:7], null, s3, v15, v[3:4]
	v_lshlrev_b64_e32 v[7:8], 3, v[8:9]
	s_wait_alu 0xfffd
	v_add_co_ci_u32_e32 v2, vcc_lo, v21, v2, vcc_lo
	v_add_co_u32 v3, vcc_lo, v19, v4
	s_wait_alu 0xfffd
	v_add_co_ci_u32_e32 v4, vcc_lo, v21, v5, vcc_lo
	v_mov_b32_e32 v12, v6
	v_add_co_u32 v9, vcc_lo, v19, v7
	v_mov_b32_e32 v5, v14
	s_wait_alu 0xfffd
	v_add_co_ci_u32_e32 v10, vcc_lo, v21, v8, vcc_lo
	v_lshlrev_b64_e32 v[6:7], 3, v[11:12]
	v_or_b32_e32 v8, 0x48, v77
	v_mad_co_u64_u32 v[24:25], null, s2, v28, 0
	v_or_b32_e32 v32, 0x50, v77
	v_or_b32_e32 v83, 20, v77
	v_mad_co_u64_u32 v[11:12], null, s3, v80, v[5:6]
	v_mad_co_u64_u32 v[15:16], null, s2, v8, 0
	s_wait_loadcnt 0x14
	v_add_co_u32 v17, vcc_lo, v19, v6
	s_wait_alu 0xfffd
	v_add_co_ci_u32_e32 v18, vcc_lo, v21, v7, vcc_lo
	s_delay_alu instid0(VALU_DEP_4)
	v_mov_b32_e32 v14, v11
	v_mad_co_u64_u32 v[11:12], null, s2, v81, 0
	v_mov_b32_e32 v5, v16
	v_or_b32_e32 v35, 0x58, v77
	v_or_b32_e32 v84, 24, v77
	;; [unrolled: 1-line block ×3, first 2 shown]
	s_wait_loadcnt 0xc
	v_or_b32_e32 v44, 0x5c, v77
	v_mad_co_u64_u32 v[26:27], null, s3, v8, v[5:6]
	s_clause 0x3
	global_load_b64 v[5:6], v[1:2], off
	global_load_b64 v[7:8], v[3:4], off
	;; [unrolled: 1-line block ×4, first 2 shown]
	v_dual_mov_b32 v9, v12 :: v_dual_mov_b32 v10, v25
	v_lshlrev_b64_e32 v[12:13], 3, v[13:14]
	v_mad_co_u64_u32 v[38:39], null, s2, v35, 0
	v_mov_b32_e32 v16, v26
	s_delay_alu instid0(VALU_DEP_4)
	v_mad_co_u64_u32 v[17:18], null, s3, v81, v[9:10]
	v_mad_co_u64_u32 v[9:10], null, s3, v28, v[10:11]
	v_add_co_u32 v26, vcc_lo, v19, v12
	s_wait_alu 0xfffd
	v_add_co_ci_u32_e32 v27, vcc_lo, v21, v13, vcc_lo
	v_lshlrev_b64_e32 v[13:14], 3, v[15:16]
	v_mov_b32_e32 v12, v17
	v_mad_co_u64_u32 v[17:18], null, s2, v82, 0
	v_mov_b32_e32 v25, v9
	v_mad_co_u64_u32 v[28:29], null, s2, v83, 0
	v_add_co_u32 v9, vcc_lo, v19, v13
	s_wait_alu 0xfffd
	v_add_co_ci_u32_e32 v10, vcc_lo, v21, v14, vcc_lo
	v_lshlrev_b64_e32 v[11:12], 3, v[11:12]
	v_lshlrev_b64_e32 v[13:14], 3, v[24:25]
	v_mad_co_u64_u32 v[24:25], null, s2, v32, 0
	v_mov_b32_e32 v15, v18
	v_mad_co_u64_u32 v[36:37], null, s2, v84, 0
	v_add_co_u32 v11, vcc_lo, v19, v11
	s_delay_alu instid0(VALU_DEP_3)
	v_mad_co_u64_u32 v[15:16], null, s3, v82, v[15:16]
	s_wait_alu 0xfffd
	v_add_co_ci_u32_e32 v12, vcc_lo, v21, v12, vcc_lo
	v_mov_b32_e32 v16, v25
	v_add_co_u32 v30, vcc_lo, v19, v13
	v_mov_b32_e32 v13, v29
	s_wait_alu 0xfffd
	v_add_co_ci_u32_e32 v31, vcc_lo, v21, v14, vcc_lo
	v_mad_co_u64_u32 v[32:33], null, s3, v32, v[16:17]
	s_delay_alu instid0(VALU_DEP_3)
	v_mad_co_u64_u32 v[33:34], null, s3, v83, v[13:14]
	v_or_b32_e32 v34, 0x54, v77
	v_mov_b32_e32 v18, v15
	s_clause 0x3
	global_load_b64 v[13:14], v[26:27], off
	global_load_b64 v[15:16], v[9:10], off
	;; [unrolled: 1-line block ×4, first 2 shown]
	v_mad_co_u64_u32 v[40:41], null, s2, v85, 0
	v_mad_co_u64_u32 v[26:27], null, s2, v34, 0
	v_mov_b32_e32 v29, v33
	v_mov_b32_e32 v25, v32
	v_mad_co_u64_u32 v[42:43], null, s2, v44, 0
	v_or_b32_e32 v79, 32, v77
	s_delay_alu instid0(VALU_DEP_4) | instskip(NEXT) | instid1(VALU_DEP_4)
	v_lshlrev_b64_e32 v[28:29], 3, v[28:29]
	v_lshlrev_b64_e32 v[24:25], 3, v[24:25]
	s_wait_loadcnt 0x10
	v_or_b32_e32 v53, 36, v77
	v_or_b32_e32 v54, 0x64, v77
	s_wait_loadcnt 0xd
	v_or_b32_e32 v70, 52, v77
	v_or_b32_e32 v73, 0x78, v77
	v_mad_co_u64_u32 v[30:31], null, s3, v34, v[27:28]
	v_mov_b32_e32 v31, v39
	v_lshlrev_b64_e32 v[17:18], 3, v[17:18]
	v_mad_co_u64_u32 v[48:49], null, s2, v53, 0
	v_or_b32_e32 v86, 0x7c, v77
	v_dual_mov_b32 v27, v30 :: v_dual_mov_b32 v30, v37
	s_delay_alu instid0(VALU_DEP_4) | instskip(SKIP_2) | instid1(VALU_DEP_3)
	v_add_co_u32 v17, vcc_lo, v19, v17
	s_wait_alu 0xfffd
	v_add_co_ci_u32_e32 v18, vcc_lo, v21, v18, vcc_lo
	v_mad_co_u64_u32 v[32:33], null, s3, v84, v[30:31]
	v_add_co_u32 v24, vcc_lo, v19, v24
	v_lshlrev_b64_e32 v[26:27], 3, v[26:27]
	s_wait_alu 0xfffd
	v_add_co_ci_u32_e32 v25, vcc_lo, v21, v25, vcc_lo
	v_add_co_u32 v28, vcc_lo, v19, v28
	v_mov_b32_e32 v37, v32
	v_mad_co_u64_u32 v[30:31], null, s3, v35, v[31:32]
	s_wait_alu 0xfffd
	v_add_co_ci_u32_e32 v29, vcc_lo, v21, v29, vcc_lo
	v_add_co_u32 v26, vcc_lo, v19, v26
	s_wait_alu 0xfffd
	v_add_co_ci_u32_e32 v27, vcc_lo, v21, v27, vcc_lo
	s_delay_alu instid0(VALU_DEP_4)
	v_mov_b32_e32 v39, v30
	s_clause 0x3
	global_load_b64 v[32:33], v[17:18], off
	global_load_b64 v[34:35], v[24:25], off
	;; [unrolled: 1-line block ×4, first 2 shown]
	v_mov_b32_e32 v26, v41
	v_lshlrev_b64_e32 v[24:25], 3, v[36:37]
	v_mov_b32_e32 v29, v43
	v_lshlrev_b64_e32 v[27:28], 3, v[38:39]
	s_delay_alu instid0(VALU_DEP_1) | instskip(NEXT) | instid1(VALU_DEP_1)
	v_mad_co_u64_u32 v[36:37], null, s3, v85, v[26:27]
	v_mov_b32_e32 v41, v36
	s_wait_loadcnt 0x1
	v_mad_co_u64_u32 v[37:38], null, s3, v44, v[29:30]
	v_mad_co_u64_u32 v[44:45], null, s2, v79, 0
	v_add_co_u32 v38, vcc_lo, v19, v24
	v_or_b32_e32 v24, 0x60, v77
	s_wait_alu 0xfffd
	v_add_co_ci_u32_e32 v39, vcc_lo, v21, v25, vcc_lo
	v_add_co_u32 v25, vcc_lo, v19, v27
	s_wait_alu 0xfffd
	v_add_co_ci_u32_e32 v26, vcc_lo, v21, v28, vcc_lo
	v_lshlrev_b64_e32 v[28:29], 3, v[40:41]
	v_mad_co_u64_u32 v[46:47], null, s2, v24, 0
	v_mov_b32_e32 v27, v45
	v_mov_b32_e32 v43, v37
	s_delay_alu instid0(VALU_DEP_2)
	v_mad_co_u64_u32 v[40:41], null, s3, v79, v[27:28]
	v_add_co_u32 v27, vcc_lo, v19, v28
	s_wait_alu 0xfffd
	v_add_co_ci_u32_e32 v28, vcc_lo, v21, v29, vcc_lo
	v_mov_b32_e32 v29, v47
	v_lshlrev_b64_e32 v[36:37], 3, v[42:43]
	v_mov_b32_e32 v45, v40
	s_delay_alu instid0(VALU_DEP_3) | instskip(NEXT) | instid1(VALU_DEP_3)
	v_mad_co_u64_u32 v[50:51], null, s3, v24, v[29:30]
	v_add_co_u32 v36, vcc_lo, v19, v36
	s_wait_alu 0xfffd
	s_delay_alu instid0(VALU_DEP_4)
	v_add_co_ci_u32_e32 v37, vcc_lo, v21, v37, vcc_lo
	s_clause 0x3
	global_load_b64 v[40:41], v[38:39], off
	global_load_b64 v[42:43], v[25:26], off
	;; [unrolled: 1-line block ×4, first 2 shown]
	v_lshlrev_b64_e32 v[26:27], 3, v[44:45]
	v_mov_b32_e32 v25, v49
	v_mad_co_u64_u32 v[51:52], null, s2, v54, 0
	v_mov_b32_e32 v47, v50
	v_or_b32_e32 v50, 40, v77
	s_delay_alu instid0(VALU_DEP_4) | instskip(SKIP_1) | instid1(VALU_DEP_3)
	v_mad_co_u64_u32 v[28:29], null, s3, v53, v[25:26]
	v_add_co_u32 v26, vcc_lo, v19, v26
	v_mad_co_u64_u32 v[44:45], null, s2, v50, 0
	v_mov_b32_e32 v25, v52
	v_lshlrev_b64_e32 v[46:47], 3, v[46:47]
	v_mov_b32_e32 v49, v28
	s_wait_alu 0xfffd
	v_add_co_ci_u32_e32 v27, vcc_lo, v21, v27, vcc_lo
	v_mad_co_u64_u32 v[52:53], null, s3, v54, v[25:26]
	v_mov_b32_e32 v25, v45
	v_add_co_u32 v28, vcc_lo, v19, v46
	v_lshlrev_b64_e32 v[45:46], 3, v[48:49]
	s_wait_alu 0xfffd
	v_add_co_ci_u32_e32 v29, vcc_lo, v21, v47, vcc_lo
	v_mad_co_u64_u32 v[47:48], null, s3, v50, v[25:26]
	v_or_b32_e32 v50, 0x68, v77
	s_delay_alu instid0(VALU_DEP_4) | instskip(SKIP_2) | instid1(VALU_DEP_3)
	v_add_co_u32 v53, vcc_lo, v19, v45
	s_wait_alu 0xfffd
	v_add_co_ci_u32_e32 v54, vcc_lo, v21, v46, vcc_lo
	v_mad_co_u64_u32 v[55:56], null, s2, v50, 0
	v_or_b32_e32 v46, 44, v77
	v_mov_b32_e32 v45, v47
	v_lshlrev_b64_e32 v[48:49], 3, v[51:52]
	v_or_b32_e32 v52, 0x6c, v77
	s_delay_alu instid0(VALU_DEP_4)
	v_mad_co_u64_u32 v[57:58], null, s2, v46, 0
	v_mov_b32_e32 v25, v56
	v_lshlrev_b64_e32 v[61:62], 3, v[44:45]
	v_add_co_u32 v59, vcc_lo, v19, v48
	s_wait_alu 0xfffd
	v_add_co_ci_u32_e32 v60, vcc_lo, v21, v49, vcc_lo
	v_mad_co_u64_u32 v[63:64], null, s3, v50, v[25:26]
	v_mov_b32_e32 v44, v58
	v_add_co_u32 v25, vcc_lo, v19, v61
	s_delay_alu instid0(VALU_DEP_2)
	v_mad_co_u64_u32 v[64:65], null, s3, v46, v[44:45]
	v_mad_co_u64_u32 v[65:66], null, s2, v52, 0
	v_mov_b32_e32 v56, v63
	s_clause 0x3
	global_load_b64 v[48:49], v[26:27], off
	global_load_b64 v[50:51], v[28:29], off
	;; [unrolled: 1-line block ×4, first 2 shown]
	s_wait_alu 0xfffd
	v_add_co_ci_u32_e32 v26, vcc_lo, v21, v62, vcc_lo
	v_mov_b32_e32 v58, v64
	v_lshlrev_b64_e32 v[28:29], 3, v[55:56]
	v_or_b32_e32 v56, 48, v77
	v_mov_b32_e32 v27, v66
	s_delay_alu instid0(VALU_DEP_2) | instskip(NEXT) | instid1(VALU_DEP_2)
	v_mad_co_u64_u32 v[60:61], null, s2, v56, 0
	v_mad_co_u64_u32 v[52:53], null, s3, v52, v[27:28]
	v_add_co_u32 v27, vcc_lo, v19, v28
	v_lshlrev_b64_e32 v[53:54], 3, v[57:58]
	s_wait_alu 0xfffd
	v_add_co_ci_u32_e32 v28, vcc_lo, v21, v29, vcc_lo
	v_or_b32_e32 v58, 0x70, v77
	v_dual_mov_b32 v29, v61 :: v_dual_mov_b32 v66, v52
	s_delay_alu instid0(VALU_DEP_4) | instskip(NEXT) | instid1(VALU_DEP_3)
	v_add_co_u32 v52, vcc_lo, v19, v53
	v_mad_co_u64_u32 v[62:63], null, s2, v58, 0
	s_delay_alu instid0(VALU_DEP_3)
	v_mad_co_u64_u32 v[56:57], null, s3, v56, v[29:30]
	s_wait_alu 0xfffd
	v_add_co_ci_u32_e32 v53, vcc_lo, v21, v54, vcc_lo
	v_lshlrev_b64_e32 v[54:55], 3, v[65:66]
	v_mad_co_u64_u32 v[66:67], null, s2, v70, 0
	v_mov_b32_e32 v29, v63
	v_mov_b32_e32 v61, v56
	s_delay_alu instid0(VALU_DEP_4)
	v_add_co_u32 v64, vcc_lo, v19, v54
	s_wait_alu 0xfffd
	v_add_co_ci_u32_e32 v65, vcc_lo, v21, v55, vcc_lo
	v_mad_co_u64_u32 v[68:69], null, s3, v58, v[29:30]
	s_clause 0x3
	global_load_b64 v[56:57], v[25:26], off
	global_load_b64 v[58:59], v[27:28], off
	;; [unrolled: 1-line block ×4, first 2 shown]
	v_lshlrev_b64_e32 v[26:27], 3, v[60:61]
	v_mov_b32_e32 v25, v67
	v_or_b32_e32 v64, 0x74, v77
	v_mov_b32_e32 v63, v68
	s_delay_alu instid0(VALU_DEP_3) | instskip(NEXT) | instid1(VALU_DEP_3)
	v_mad_co_u64_u32 v[28:29], null, s3, v70, v[25:26]
	v_mad_co_u64_u32 v[60:61], null, s2, v64, 0
	v_or_b32_e32 v70, 56, v77
	v_add_co_u32 v25, vcc_lo, v19, v26
	s_wait_alu 0xfffd
	v_add_co_ci_u32_e32 v26, vcc_lo, v21, v27, vcc_lo
	v_mov_b32_e32 v67, v28
	v_mad_co_u64_u32 v[28:29], null, s2, v70, 0
	v_mov_b32_e32 v27, v61
	v_mad_co_u64_u32 v[68:69], null, s2, v73, 0
	v_lshlrev_b64_e32 v[62:63], 3, v[62:63]
	s_delay_alu instid0(VALU_DEP_3) | instskip(SKIP_4) | instid1(VALU_DEP_4)
	v_mad_co_u64_u32 v[64:65], null, s3, v64, v[27:28]
	v_mov_b32_e32 v27, v29
	v_lshlrev_b64_e32 v[65:66], 3, v[66:67]
	v_or_b32_e32 v67, 60, v77
	v_add_co_u32 v62, vcc_lo, v19, v62
	v_mad_co_u64_u32 v[70:71], null, s3, v70, v[27:28]
	v_mov_b32_e32 v27, v69
	s_delay_alu instid0(VALU_DEP_4) | instskip(SKIP_2) | instid1(VALU_DEP_3)
	v_mad_co_u64_u32 v[71:72], null, s2, v67, 0
	s_wait_alu 0xfffd
	v_add_co_ci_u32_e32 v63, vcc_lo, v21, v63, vcc_lo
	v_mad_co_u64_u32 v[73:74], null, s3, v73, v[27:28]
	v_mad_co_u64_u32 v[74:75], null, s2, v86, 0
	s_delay_alu instid0(VALU_DEP_4)
	v_mov_b32_e32 v27, v72
	v_mov_b32_e32 v29, v70
	;; [unrolled: 1-line block ×3, first 2 shown]
	v_add_co_u32 v64, vcc_lo, v19, v65
	s_wait_alu 0xfffd
	v_add_co_ci_u32_e32 v65, vcc_lo, v21, v66, vcc_lo
	v_mad_co_u64_u32 v[66:67], null, s3, v67, v[27:28]
	v_lshlrev_b64_e32 v[28:29], 3, v[28:29]
	v_mov_b32_e32 v27, v75
	v_lshlrev_b64_e32 v[60:61], 3, v[60:61]
	s_delay_alu instid0(VALU_DEP_4) | instskip(NEXT) | instid1(VALU_DEP_3)
	v_dual_mov_b32 v69, v73 :: v_dual_mov_b32 v72, v66
	v_mad_co_u64_u32 v[86:87], null, s3, v86, v[27:28]
	s_delay_alu instid0(VALU_DEP_3) | instskip(NEXT) | instid1(VALU_DEP_3)
	v_add_co_u32 v60, vcc_lo, v19, v60
	v_lshlrev_b64_e32 v[67:68], 3, v[68:69]
	s_wait_alu 0xfffd
	v_add_co_ci_u32_e32 v61, vcc_lo, v21, v61, vcc_lo
	v_add_co_u32 v27, vcc_lo, v19, v28
	v_mov_b32_e32 v75, v86
	v_lshlrev_b64_e32 v[69:70], 3, v[71:72]
	s_wait_alu 0xfffd
	v_add_co_ci_u32_e32 v28, vcc_lo, v21, v29, vcc_lo
	v_add_co_u32 v86, vcc_lo, v19, v67
	v_lshlrev_b64_e32 v[66:67], 3, v[74:75]
	s_wait_alu 0xfffd
	v_add_co_ci_u32_e32 v87, vcc_lo, v21, v68, vcc_lo
	v_add_co_u32 v88, vcc_lo, v19, v69
	s_wait_alu 0xfffd
	v_add_co_ci_u32_e32 v89, vcc_lo, v21, v70, vcc_lo
	v_add_co_u32 v90, vcc_lo, v19, v66
	s_wait_alu 0xfffd
	v_add_co_ci_u32_e32 v91, vcc_lo, v21, v67, vcc_lo
	s_clause 0x7
	global_load_b64 v[72:73], v[25:26], off
	global_load_b64 v[74:75], v[62:63], off
	;; [unrolled: 1-line block ×8, first 2 shown]
	v_mov_b32_e32 v29, 0
	s_delay_alu instid0(VALU_DEP_1)
	v_mov_b32_e32 v21, v29
	v_mov_b32_e32 v27, v29
	;; [unrolled: 1-line block ×3, first 2 shown]
.LBB0_10:
	s_wait_loadcnt 0x12
	v_dual_sub_f32 v42, v40, v42 :: v_dual_sub_f32 v43, v41, v43
	v_dual_sub_f32 v7, v5, v7 :: v_dual_sub_f32 v8, v6, v8
	v_dual_sub_f32 v86, v32, v34 :: v_dual_sub_f32 v87, v33, v35
	s_wait_loadcnt 0x0
	v_dual_sub_f32 v64, v60, v64 :: v_dual_lshlrev_b32 v19, 9, v77
	v_dual_sub_f32 v65, v61, v65 :: v_dual_lshlrev_b32 v34, 3, v76
	v_dual_sub_f32 v1, v3, v1 :: v_dual_sub_f32 v2, v4, v2
	v_fma_f32 v35, v40, 2.0, -v42
	v_sub_f32_e32 v40, v38, v36
	v_fma_f32 v36, v41, 2.0, -v43
	v_dual_sub_f32 v41, v39, v37 :: v_dual_lshlrev_b32 v26, 9, v78
	v_fma_f32 v5, v5, 2.0, -v7
	v_fma_f32 v6, v6, 2.0, -v8
	v_dual_sub_f32 v15, v13, v15 :: v_dual_sub_f32 v16, v14, v16
	v_add3_u32 v19, 0, v19, v34
	v_lshlrev_b32_e32 v28, 9, v80
	v_fma_f32 v3, v3, 2.0, -v1
	v_fma_f32 v4, v4, 2.0, -v2
	v_dual_sub_f32 v9, v11, v9 :: v_dual_sub_f32 v10, v12, v10
	v_fma_f32 v37, v38, 2.0, -v40
	v_fma_f32 v38, v39, 2.0, -v41
	v_add3_u32 v26, 0, v26, v34
	v_lshlrev_b32_e32 v39, 9, v81
	v_fma_f32 v13, v13, 2.0, -v15
	v_fma_f32 v14, v14, 2.0, -v16
	ds_store_2addr_b64 v19, v[5:6], v[7:8] offset1:32
	ds_store_2addr_b64 v26, v[3:4], v[1:2] offset1:32
	v_add3_u32 v1, 0, v28, v34
	v_lshlrev_b32_e32 v3, 9, v82
	v_lshlrev_b32_e32 v4, 9, v83
	v_fma_f32 v11, v11, 2.0, -v9
	v_fma_f32 v12, v12, 2.0, -v10
	v_dual_sub_f32 v17, v30, v17 :: v_dual_sub_f32 v18, v31, v18
	v_add3_u32 v2, 0, v39, v34
	v_lshlrev_b32_e32 v5, 9, v84
	v_fma_f32 v32, v32, 2.0, -v86
	v_fma_f32 v33, v33, 2.0, -v87
	ds_store_2addr_b64 v1, v[13:14], v[15:16] offset1:32
	ds_store_2addr_b64 v2, v[11:12], v[9:10] offset1:32
	v_add3_u32 v1, 0, v3, v34
	v_add3_u32 v2, 0, v4, v34
	v_lshlrev_b32_e32 v4, 9, v85
	v_bfe_u32 v0, v0, 5, 1
	v_fma_f32 v30, v30, 2.0, -v17
	v_fma_f32 v31, v31, 2.0, -v18
	v_dual_sub_f32 v50, v48, v50 :: v_dual_sub_f32 v51, v49, v51
	v_add3_u32 v3, 0, v5, v34
	v_dual_sub_f32 v44, v46, v44 :: v_dual_lshlrev_b32 v5, 9, v79
	v_dual_sub_f32 v45, v47, v45 :: v_dual_sub_f32 v58, v56, v58
	v_dual_sub_f32 v59, v57, v59 :: v_dual_sub_f32 v52, v54, v52
	;; [unrolled: 1-line block ×3, first 2 shown]
	v_sub_f32_e32 v75, v73, v75
	ds_store_2addr_b64 v1, v[32:33], v[86:87] offset1:32
	ds_store_2addr_b64 v2, v[30:31], v[17:18] offset1:32
	;; [unrolled: 1-line block ×3, first 2 shown]
	v_add3_u32 v1, 0, v4, v34
	v_mul_u32_u24_e32 v0, 3, v0
	v_fma_f32 v48, v48, 2.0, -v50
	v_fma_f32 v49, v49, 2.0, -v51
	v_dual_sub_f32 v66, v70, v66 :: v_dual_sub_f32 v67, v71, v67
	v_add3_u32 v2, 0, v5, v34
	v_fma_f32 v46, v46, 2.0, -v44
	v_fma_f32 v47, v47, 2.0, -v45
	v_dual_sub_f32 v68, v62, v68 :: v_dual_sub_f32 v69, v63, v69
	v_add_nc_u32_e32 v3, 0x4800, v19
	v_fma_f32 v56, v56, 2.0, -v58
	v_fma_f32 v57, v57, 2.0, -v59
	v_add_nc_u32_e32 v4, 0x5000, v19
	v_fma_f32 v54, v54, 2.0, -v52
	v_fma_f32 v55, v55, 2.0, -v53
	;; [unrolled: 3-line block ×3, first 2 shown]
	ds_store_2addr_b64 v1, v[37:38], v[40:41] offset1:32
	ds_store_2addr_b64 v2, v[48:49], v[50:51] offset1:32
	;; [unrolled: 1-line block ×5, first 2 shown]
	v_add_nc_u32_e32 v1, 0x6000, v19
	v_lshlrev_b32_e32 v0, 3, v0
	v_fma_f32 v70, v70, 2.0, -v66
	v_fma_f32 v71, v71, 2.0, -v67
	v_add_nc_u32_e32 v2, 0x6800, v19
	v_fma_f32 v62, v62, 2.0, -v68
	v_fma_f32 v63, v63, 2.0, -v69
	v_add_nc_u32_e32 v3, 0x7000, v19
	;; [unrolled: 3-line block ×3, first 2 shown]
	ds_store_2addr_b64 v1, v[72:73], v[74:75] offset1:32
	ds_store_2addr_b64 v2, v[70:71], v[66:67] offset1:32
	;; [unrolled: 1-line block ×4, first 2 shown]
	global_wb scope:SCOPE_SE
	s_wait_dscnt 0x0
	s_barrier_signal -1
	s_barrier_wait -1
	global_inv scope:SCOPE_SE
	s_clause 0x1
	global_load_b64 v[4:5], v0, s[10:11] offset:16
	global_load_b128 v[0:3], v0, s[10:11]
	v_lshlrev_b32_e32 v6, 8, v77
	v_lshl_or_b32 v15, v77, 2, v77
	v_lshlrev_b32_e32 v7, 8, v79
	v_lshlrev_b32_e32 v8, 8, v78
	;; [unrolled: 1-line block ×8, first 2 shown]
	v_add3_u32 v46, 0, v6, v34
	v_and_b32_e32 v6, 9, v15
	v_add3_u32 v38, 0, v7, v34
	v_add3_u32 v40, 0, v8, v34
	;; [unrolled: 1-line block ×8, first 2 shown]
	v_lshlrev_b32_e32 v26, 8, v6
	ds_load_2addr_stride64_b64 v[6:9], v46 offset0:48 offset1:50
	ds_load_2addr_stride64_b64 v[10:13], v46 offset0:52 offset1:54
	;; [unrolled: 1-line block ×3, first 2 shown]
	ds_load_2addr_stride64_b64 v[30:33], v46 offset1:18
	ds_load_2addr_stride64_b64 v[47:50], v46 offset0:56 offset1:58
	ds_load_2addr_stride64_b64 v[54:57], v46 offset0:20 offset1:22
	;; [unrolled: 1-line block ×8, first 2 shown]
	ds_load_b64 v[18:19], v38
	ds_load_b64 v[35:36], v40
	;; [unrolled: 1-line block ×8, first 2 shown]
	global_wb scope:SCOPE_SE
	s_wait_loadcnt_dscnt 0x0
	s_barrier_signal -1
	s_barrier_wait -1
	global_inv scope:SCOPE_SE
	v_cmp_gt_u64_e32 vcc_lo, s[12:13], v[22:23]
	s_or_b32 s12, s14, vcc_lo
	v_mul_f32_e32 v102, v8, v5
	v_mul_f32_e32 v28, v7, v5
	;; [unrolled: 1-line block ×19, first 2 shown]
	v_dual_mul_f32 v118, v16, v3 :: v_dual_mul_f32 v119, v55, v1
	v_mul_f32_e32 v120, v54, v1
	v_dual_fmac_f32 v102, v9, v4 :: v_dual_mul_f32 v9, v56, v1
	v_mul_f32_e32 v114, v19, v1
	v_fma_f32 v6, v6, v4, -v28
	v_fmac_f32_e32 v37, v7, v4
	v_fma_f32 v7, v8, v4, -v45
	v_mul_f32_e32 v8, v57, v1
	v_mul_f32_e32 v28, v59, v3
	v_mul_f32_e32 v45, v58, v3
	v_fma_f32 v10, v10, v4, -v103
	v_fmac_f32_e32 v104, v11, v4
	v_fma_f32 v11, v12, v4, -v105
	v_dual_fmac_f32 v106, v13, v4 :: v_dual_mul_f32 v103, v63, v1
	v_mul_f32_e32 v12, v61, v3
	v_mul_f32_e32 v13, v60, v3
	;; [unrolled: 1-line block ×3, first 2 shown]
	v_fma_f32 v47, v47, v4, -v107
	v_dual_fmac_f32 v108, v48, v4 :: v_dual_mul_f32 v107, v67, v3
	v_fma_f32 v48, v49, v4, -v109
	v_dual_fmac_f32 v110, v50, v4 :: v_dual_mul_f32 v49, v65, v1
	v_dual_mul_f32 v50, v64, v1 :: v_dual_mul_f32 v109, v66, v3
	v_fma_f32 v86, v86, v4, -v111
	v_dual_fmac_f32 v112, v87, v4 :: v_dual_mul_f32 v111, v70, v1
	v_fma_f32 v87, v88, v4, -v113
	v_dual_fmac_f32 v5, v89, v4 :: v_dual_mul_f32 v88, v68, v3
	v_dual_mul_f32 v4, v69, v3 :: v_dual_mul_f32 v121, v72, v1
	v_fma_f32 v14, v14, v2, -v115
	v_fmac_f32_e32 v116, v15, v2
	v_fma_f32 v15, v16, v2, -v117
	v_fmac_f32_e32 v118, v17, v2
	v_dual_mul_f32 v16, v91, v3 :: v_dual_fmac_f32 v9, v57, v0
	v_mul_f32_e32 v17, v90, v3
	v_dual_mul_f32 v115, v93, v3 :: v_dual_fmac_f32 v120, v55, v0
	v_mul_f32_e32 v3, v92, v3
	v_fma_f32 v54, v54, v0, -v119
	v_dual_mul_f32 v55, v18, v1 :: v_dual_fmac_f32 v50, v65, v0
	v_dual_mul_f32 v57, v32, v1 :: v_dual_fmac_f32 v88, v69, v2
	v_mul_f32_e32 v89, v71, v1
	v_mul_f32_e32 v113, v73, v1
	v_fma_f32 v8, v56, v0, -v8
	v_dual_mul_f32 v56, v33, v1 :: v_dual_fmac_f32 v45, v59, v2
	v_fma_f32 v1, v58, v2, -v28
	v_fma_f32 v12, v60, v2, -v12
	;; [unrolled: 1-line block ×3, first 2 shown]
	v_dual_fmac_f32 v105, v63, v0 :: v_dual_sub_f32 v14, v30, v14
	v_fma_f32 v49, v64, v0, -v49
	v_fma_f32 v58, v66, v2, -v107
	v_fmac_f32_e32 v109, v67, v2
	v_fma_f32 v4, v68, v2, -v4
	v_fma_f32 v16, v90, v2, -v16
	v_fmac_f32_e32 v17, v91, v2
	v_fma_f32 v60, v92, v2, -v115
	v_dual_fmac_f32 v55, v19, v0 :: v_dual_sub_f32 v10, v54, v10
	v_fmac_f32_e32 v13, v61, v2
	v_fmac_f32_e32 v3, v93, v2
	v_fma_f32 v2, v18, v0, -v114
	v_dual_fmac_f32 v57, v33, v0 :: v_dual_sub_f32 v58, v94, v58
	v_fma_f32 v59, v70, v0, -v89
	s_delay_alu instid0(VALU_DEP_3)
	v_dual_fmac_f32 v111, v71, v0 :: v_dual_sub_f32 v6, v2, v6
	v_fma_f32 v89, v72, v0, -v113
	v_fmac_f32_e32 v121, v73, v0
	v_fma_f32 v18, v32, v0, -v56
	v_sub_f32_e32 v32, v35, v15
	v_sub_f32_e32 v19, v31, v116
	v_dual_sub_f32 v0, v55, v37 :: v_dual_sub_f32 v33, v36, v118
	v_sub_f32_e32 v48, v49, v48
	v_dual_sub_f32 v15, v57, v102 :: v_dual_sub_f32 v92, v98, v16
	v_dual_sub_f32 v37, v43, v1 :: v_dual_sub_f32 v66, v50, v110
	v_sub_f32_e32 v45, v44, v45
	v_sub_f32_e32 v56, v120, v104
	v_dual_sub_f32 v61, v74, v12 :: v_dual_sub_f32 v104, v89, v87
	v_dual_sub_f32 v62, v75, v13 :: v_dual_sub_f32 v11, v8, v11
	;; [unrolled: 1-line block ×3, first 2 shown]
	v_sub_f32_e32 v13, v28, v47
	v_sub_f32_e32 v47, v105, v108
	v_dual_sub_f32 v64, v96, v4 :: v_dual_sub_f32 v7, v18, v7
	v_dual_sub_f32 v12, v9, v106 :: v_dual_sub_f32 v93, v99, v17
	v_sub_f32_e32 v4, v37, v56
	v_sub_f32_e32 v106, v121, v5
	v_fma_f32 v67, v30, 2.0, -v14
	v_fma_f32 v68, v31, 2.0, -v19
	;; [unrolled: 1-line block ×4, first 2 shown]
	v_sub_f32_e32 v0, v14, v0
	v_fma_f32 v69, v35, 2.0, -v32
	v_fma_f32 v70, v36, 2.0, -v33
	;; [unrolled: 1-line block ×3, first 2 shown]
	v_dual_sub_f32 v2, v32, v15 :: v_dual_sub_f32 v65, v97, v88
	v_sub_f32_e32 v88, v59, v86
	v_sub_f32_e32 v86, v111, v112
	v_fma_f32 v71, v43, 2.0, -v37
	v_fma_f32 v72, v44, 2.0, -v45
	;; [unrolled: 1-line block ×7, first 2 shown]
	v_sub_f32_e32 v8, v58, v47
	v_fma_f32 v75, v94, 2.0, -v58
	v_fma_f32 v87, v95, 2.0, -v63
	;; [unrolled: 1-line block ×6, first 2 shown]
	v_sub_f32_e32 v103, v101, v3
	v_dual_add_f32 v1, v19, v6 :: v_dual_sub_f32 v6, v61, v12
	v_fma_f32 v18, v18, 2.0, -v7
	v_add_f32_e32 v3, v33, v7
	v_add_f32_e32 v5, v45, v10
	v_fma_f32 v43, v9, 2.0, -v12
	v_add_f32_e32 v7, v62, v11
	v_add_f32_e32 v9, v63, v13
	v_fma_f32 v50, v50, 2.0, -v66
	v_dual_sub_f32 v10, v64, v66 :: v_dual_add_f32 v11, v65, v48
	v_sub_f32_e32 v60, v47, v49
	v_fma_f32 v48, v98, 2.0, -v92
	v_fma_f32 v66, v59, 2.0, -v88
	;; [unrolled: 1-line block ×3, first 2 shown]
	v_dual_sub_f32 v12, v67, v16 :: v_dual_sub_f32 v13, v68, v17
	v_sub_f32_e32 v56, v75, v28
	v_sub_f32_e32 v57, v87, v44
	v_fma_f32 v28, v89, 2.0, -v104
	v_dual_sub_f32 v17, v70, v30 :: v_dual_sub_f32 v30, v71, v31
	v_sub_f32_e32 v31, v72, v35
	v_sub_f32_e32 v35, v73, v36
	v_lshlrev_b32_e32 v49, 2, v78
	v_add3_u32 v26, 0, v26, v34
	v_fma_f32 v90, v97, 2.0, -v65
	v_fma_f32 v94, v111, 2.0, -v86
	;; [unrolled: 1-line block ×4, first 2 shown]
	v_sub_f32_e32 v16, v69, v18
	v_sub_f32_e32 v36, v74, v43
	v_fma_f32 v55, v62, 2.0, -v7
	v_fma_f32 v62, v64, 2.0, -v10
	v_sub_f32_e32 v64, v48, v66
	v_fma_f32 v43, v67, 2.0, -v12
	v_fma_f32 v44, v68, 2.0, -v13
	;; [unrolled: 1-line block ×4, first 2 shown]
	v_sub_f32_e32 v86, v92, v86
	v_fma_f32 v73, v87, 2.0, -v57
	v_add_f32_e32 v87, v93, v88
	v_sub_f32_e32 v88, v95, v28
	v_or_b32_e32 v28, v49, v77
	v_fma_f32 v54, v61, 2.0, -v6
	ds_store_2addr_stride64_b64 v26, v[43:44], v[14:15] offset1:1
	ds_store_2addr_stride64_b64 v26, v[12:13], v[0:1] offset0:2 offset1:3
	v_sub_f32_e32 v14, v102, v106
	v_fma_f32 v66, v69, 2.0, -v16
	v_and_b32_e32 v15, 0xf9, v28
	v_sub_f32_e32 v61, v90, v50
	v_fma_f32 v69, v72, 2.0, -v31
	v_fma_f32 v72, v75, 2.0, -v56
	;; [unrolled: 1-line block ×3, first 2 shown]
	v_lshlrev_b32_e32 v28, 8, v15
	v_fma_f32 v75, v90, 2.0, -v61
	v_fma_f32 v90, v48, 2.0, -v64
	v_lshlrev_b32_e32 v48, 2, v80
	v_fma_f32 v18, v32, 2.0, -v2
	v_fma_f32 v32, v37, 2.0, -v4
	;; [unrolled: 1-line block ×4, first 2 shown]
	v_or_b32_e32 v26, v48, v77
	v_fma_f32 v33, v45, 2.0, -v5
	v_fma_f32 v68, v71, 2.0, -v30
	v_sub_f32_e32 v89, v96, v37
	v_fma_f32 v71, v74, 2.0, -v36
	v_and_b32_e32 v26, 0xf9, v26
	v_fma_f32 v74, v47, 2.0, -v60
	v_add_f32_e32 v15, v103, v104
	v_lshlrev_b32_e32 v47, 2, v81
	v_lshlrev_b32_e32 v45, 2, v82
	;; [unrolled: 1-line block ×3, first 2 shown]
	v_add3_u32 v28, 0, v28, v34
	v_fma_f32 v91, v99, 2.0, -v93
	v_or_b32_e32 v37, v47, v77
	v_or_b32_e32 v43, v45, v77
	v_add3_u32 v26, 0, v26, v34
	ds_store_2addr_stride64_b64 v28, v[66:67], v[18:19] offset1:1
	ds_store_2addr_stride64_b64 v28, v[16:17], v[2:3] offset0:2 offset1:3
	v_lshlrev_b32_e32 v44, 2, v83
	v_lshlrev_b32_e32 v28, 2, v84
	v_fma_f32 v59, v63, 2.0, -v9
	v_fma_f32 v63, v65, 2.0, -v11
	v_dual_sub_f32 v65, v91, v94 :: v_dual_and_b32 v2, 0xf9, v37
	v_and_b32_e32 v3, 0xf9, v43
	ds_store_2addr_stride64_b64 v26, v[68:69], v[32:33] offset1:1
	ds_store_2addr_stride64_b64 v26, v[30:31], v[4:5] offset0:2 offset1:3
	v_or_b32_e32 v4, v44, v77
	v_or_b32_e32 v5, v28, v77
	v_lshlrev_b32_e32 v2, 8, v2
	v_lshlrev_b32_e32 v3, 8, v3
	;; [unrolled: 1-line block ×3, first 2 shown]
	v_and_b32_e32 v4, 0xf9, v4
	v_and_b32_e32 v5, 0xf9, v5
	v_fma_f32 v58, v58, 2.0, -v8
	v_add3_u32 v2, 0, v2, v34
	v_add3_u32 v3, 0, v3, v34
	v_or_b32_e32 v16, v26, v77
	v_lshlrev_b32_e32 v4, 8, v4
	v_lshlrev_b32_e32 v5, 8, v5
	v_fma_f32 v91, v91, 2.0, -v65
	v_fma_f32 v0, v92, 2.0, -v86
	;; [unrolled: 1-line block ×3, first 2 shown]
	ds_store_2addr_stride64_b64 v2, v[70:71], v[54:55] offset1:1
	ds_store_2addr_stride64_b64 v2, v[35:36], v[6:7] offset0:2 offset1:3
	v_and_b32_e32 v2, 0xf9, v16
	v_add3_u32 v4, 0, v4, v34
	ds_store_2addr_stride64_b64 v3, v[72:73], v[58:59] offset1:1
	ds_store_2addr_stride64_b64 v3, v[56:57], v[8:9] offset0:2 offset1:3
	v_add3_u32 v3, 0, v5, v34
	ds_store_2addr_stride64_b64 v4, v[74:75], v[62:63] offset1:1
	ds_store_2addr_stride64_b64 v4, v[60:61], v[10:11] offset0:2 offset1:3
	v_lshlrev_b32_e32 v2, 8, v2
	v_and_b32_e32 v35, 7, v81
	ds_store_2addr_stride64_b64 v3, v[90:91], v[0:1] offset1:1
	ds_store_2addr_stride64_b64 v3, v[64:65], v[86:87] offset0:2 offset1:3
	v_mul_u32_u24_e32 v0, 3, v77
	v_fma_f32 v12, v95, 2.0, -v88
	v_fma_f32 v13, v96, 2.0, -v89
	;; [unrolled: 1-line block ×4, first 2 shown]
	v_add3_u32 v2, 0, v2, v34
	v_mul_u32_u24_e32 v1, 3, v35
	v_lshlrev_b32_e32 v43, 3, v0
	ds_store_2addr_stride64_b64 v2, v[12:13], v[92:93] offset1:1
	ds_store_2addr_stride64_b64 v2, v[88:89], v[14:15] offset0:2 offset1:3
	global_wb scope:SCOPE_SE
	s_wait_dscnt 0x0
	s_barrier_signal -1
	v_lshlrev_b32_e32 v18, 3, v1
	s_barrier_wait -1
	global_inv scope:SCOPE_SE
	global_load_b128 v[0:3], v43, s[10:11] offset:48
	v_and_b32_e32 v36, 7, v83
	global_load_b128 v[4:7], v18, s[10:11] offset:48
	v_and_b32_e32 v37, 7, v85
	v_and_or_b32 v116, 0xe0, v48, v77
	v_mul_u32_u24_e32 v8, 3, v36
	s_delay_alu instid0(VALU_DEP_1) | instskip(NEXT) | instid1(VALU_DEP_4)
	v_lshlrev_b32_e32 v32, 3, v8
	v_mul_u32_u24_e32 v8, 3, v37
	global_load_b128 v[12:15], v32, s[10:11] offset:48
	v_lshlrev_b32_e32 v50, 3, v8
	global_load_b128 v[8:11], v50, s[10:11] offset:48
	v_and_b32_e32 v58, 7, v78
	v_add_nc_u32_e32 v110, 0x6000, v46
	s_delay_alu instid0(VALU_DEP_2) | instskip(NEXT) | instid1(VALU_DEP_1)
	v_mul_u32_u24_e32 v16, 3, v58
	v_lshlrev_b32_e32 v54, 3, v16
	s_clause 0x5
	global_load_b64 v[30:31], v54, s[10:11] offset:64
	global_load_b64 v[16:17], v43, s[10:11] offset:64
	;; [unrolled: 1-line block ×4, first 2 shown]
	global_load_b128 v[54:57], v54, s[10:11] offset:48
	global_load_b64 v[74:75], v50, s[10:11] offset:64
	v_and_or_b32 v50, 0xe0, v49, v58
	ds_load_2addr_stride64_b64 v[58:61], v46 offset0:20 offset1:22
	ds_load_2addr_stride64_b64 v[62:65], v46 offset0:36 offset1:38
	;; [unrolled: 1-line block ×10, first 2 shown]
	ds_load_2addr_b32 v[114:115], v110 offset1:1
	ds_load_2addr_stride64_b64 v[110:113], v46 offset1:18
	s_wait_loadcnt_dscnt 0x90b
	v_mul_f32_e32 v118, v58, v1
	v_mul_f32_e32 v117, v59, v1
	s_wait_loadcnt 0x8
	v_mul_f32_e32 v119, v61, v5
	s_wait_dscnt 0xa
	v_dual_mul_f32 v120, v60, v5 :: v_dual_mul_f32 v5, v65, v7
	v_fmac_f32_e32 v118, v59, v0
	v_fma_f32 v58, v58, v0, -v117
	v_fma_f32 v59, v60, v4, -v119
	v_mul_f32_e32 v60, v64, v7
	v_fmac_f32_e32 v120, v61, v4
	v_mul_f32_e32 v4, v63, v3
	v_fma_f32 v64, v64, v6, -v5
	s_delay_alu instid0(VALU_DEP_4)
	v_dual_mul_f32 v61, v62, v3 :: v_dual_fmac_f32 v60, v65, v6
	s_wait_dscnt 0x9
	v_mul_f32_e32 v65, v66, v1
	v_mul_f32_e32 v7, v67, v1
	s_wait_loadcnt 0x7
	v_mul_f32_e32 v5, v69, v13
	v_fma_f32 v62, v62, v2, -v4
	v_mul_f32_e32 v117, v68, v13
	v_dual_fmac_f32 v65, v67, v0 :: v_dual_lshlrev_b32 v50, 8, v50
	s_delay_alu instid0(VALU_DEP_4)
	v_fma_f32 v67, v68, v12, -v5
	ds_load_b64 v[4:5], v38
	v_fmac_f32_e32 v117, v69, v12
	s_wait_dscnt 0x9
	v_dual_mul_f32 v6, v73, v15 :: v_dual_fmac_f32 v61, v63, v2
	v_mul_f32_e32 v63, v72, v15
	v_mul_f32_e32 v121, v70, v3
	s_wait_dscnt 0x8
	v_mul_f32_e32 v69, v87, v1
	v_mul_f32_e32 v119, v71, v3
	v_fma_f32 v68, v72, v14, -v6
	v_fmac_f32_e32 v63, v73, v14
	v_fmac_f32_e32 v121, v71, v2
	v_mul_f32_e32 v71, v86, v1
	s_wait_loadcnt 0x6
	v_mul_f32_e32 v72, v89, v9
	v_mul_f32_e32 v73, v88, v9
	s_wait_dscnt 0x7
	v_mul_f32_e32 v9, v93, v11
	v_fma_f32 v69, v86, v0, -v69
	v_mul_f32_e32 v86, v92, v11
	v_fma_f32 v66, v66, v0, -v7
	ds_load_b64 v[6:7], v40
	ds_load_b64 v[12:13], v41
	ds_load_b64 v[14:15], v46 offset:31744
	v_fma_f32 v72, v88, v8, -v72
	s_wait_dscnt 0x3
	v_mul_f32_e32 v11, v1, v5
	v_fma_f32 v88, v92, v10, -v9
	v_fmac_f32_e32 v86, v93, v10
	v_mul_f32_e32 v92, v3, v94
	v_fmac_f32_e32 v71, v87, v0
	v_dual_fmac_f32 v73, v89, v8 :: v_dual_mul_f32 v8, v91, v3
	v_mul_f32_e32 v87, v90, v3
	v_mul_f32_e32 v89, v1, v4
	;; [unrolled: 1-line block ×3, first 2 shown]
	s_wait_loadcnt 0x5
	v_mul_f32_e32 v3, v99, v31
	s_wait_loadcnt 0x4
	v_dual_mul_f32 v31, v98, v31 :: v_dual_mul_f32 v10, v101, v17
	v_fmac_f32_e32 v92, v2, v95
	v_fma_f32 v70, v70, v2, -v119
	v_fma_f32 v95, v98, v30, -v3
	s_wait_loadcnt 0x3
	v_mul_f32_e32 v98, v103, v19
	v_fmac_f32_e32 v31, v99, v30
	v_fma_f32 v30, v100, v16, -v10
	v_mul_f32_e32 v19, v102, v19
	v_mul_f32_e32 v99, v105, v17
	v_fma_f32 v98, v102, v18, -v98
	v_mul_f32_e32 v102, v108, v17
	v_sub_f32_e32 v30, v58, v30
	v_fmac_f32_e32 v87, v91, v2
	v_mul_f32_e32 v91, v100, v17
	v_dual_fmac_f32 v19, v103, v18 :: v_dual_mul_f32 v18, v104, v17
	v_fma_f32 v99, v104, v16, -v99
	s_wait_loadcnt 0x1
	v_dual_mul_f32 v103, v115, v17 :: v_dual_mul_f32 v104, v113, v55
	s_wait_dscnt 0x1
	v_dual_fmac_f32 v91, v101, v16 :: v_dual_sub_f32 v62, v12, v62
	v_mul_f32_e32 v101, v109, v17
	v_mul_f32_e32 v17, v17, v114
	v_fma_f32 v90, v90, v2, -v8
	v_fmac_f32_e32 v18, v105, v16
	v_fma_f32 v94, v2, v94, -v1
	v_fmac_f32_e32 v89, v0, v5
	v_fma_f32 v101, v108, v16, -v101
	v_fmac_f32_e32 v102, v109, v16
	v_fma_f32 v103, v16, v114, -v103
	s_wait_loadcnt_dscnt 0x0
	v_dual_fmac_f32 v17, v115, v16 :: v_dual_mul_f32 v16, v14, v75
	v_fma_f32 v93, v0, v4, -v11
	ds_load_b64 v[0:1], v42
	ds_load_b64 v[2:3], v39
	;; [unrolled: 1-line block ×4, first 2 shown]
	v_mul_f32_e32 v100, v107, v33
	v_mul_f32_e32 v33, v106, v33
	ds_load_b64 v[10:11], v53
	v_mul_f32_e32 v55, v112, v55
	v_mul_f32_e32 v105, v15, v75
	v_fma_f32 v100, v106, v32, -v100
	v_fmac_f32_e32 v16, v15, v74
	v_fma_f32 v58, v58, 2.0, -v30
	v_sub_f32_e32 v18, v65, v18
	global_wb scope:SCOPE_SE
	s_wait_dscnt 0x0
	s_barrier_signal -1
	s_barrier_wait -1
	global_inv scope:SCOPE_SE
	v_fma_f32 v65, v65, 2.0, -v18
	v_add3_u32 v50, 0, v50, v34
	v_sub_f32_e32 v60, v1, v60
	v_dual_fmac_f32 v33, v107, v32 :: v_dual_mul_f32 v32, v97, v57
	v_mul_f32_e32 v57, v96, v57
	v_sub_f32_e32 v68, v4, v68
	v_fma_f32 v14, v14, v74, -v105
	v_sub_f32_e32 v74, v111, v92
	v_fma_f32 v32, v96, v56, -v32
	v_sub_f32_e32 v96, v5, v63
	v_fmac_f32_e32 v57, v97, v56
	v_fma_f32 v56, v112, v54, -v104
	v_sub_f32_e32 v92, v59, v98
	v_sub_f32_e32 v90, v8, v90
	;; [unrolled: 1-line block ×3, first 2 shown]
	v_fmac_f32_e32 v55, v113, v54
	v_dual_sub_f32 v54, v110, v94 :: v_dual_sub_f32 v75, v56, v95
	v_dual_sub_f32 v94, v3, v121 :: v_dual_sub_f32 v95, v66, v99
	v_sub_f32_e32 v32, v6, v32
	v_dual_sub_f32 v70, v2, v70 :: v_dual_sub_f32 v15, v93, v103
	s_delay_alu instid0(VALU_DEP_3) | instskip(NEXT) | instid1(VALU_DEP_4)
	v_fma_f32 v108, v3, 2.0, -v94
	v_fma_f32 v66, v66, 2.0, -v95
	v_add_f32_e32 v3, v94, v95
	v_fma_f32 v95, v4, 2.0, -v68
	v_dual_sub_f32 v97, v69, v101 :: v_dual_sub_f32 v64, v0, v64
	v_sub_f32_e32 v63, v67, v100
	v_sub_f32_e32 v100, v11, v86
	v_dual_sub_f32 v57, v7, v57 :: v_dual_sub_f32 v102, v73, v16
	v_fma_f32 v106, v1, 2.0, -v60
	v_fma_f32 v59, v59, 2.0, -v92
	v_add_f32_e32 v1, v60, v92
	v_fma_f32 v92, v2, 2.0, -v70
	v_sub_f32_e32 v2, v70, v18
	v_fma_f32 v16, v93, 2.0, -v15
	v_fma_f32 v93, v6, 2.0, -v32
	v_fma_f32 v69, v69, 2.0, -v97
	v_sub_f32_e32 v99, v10, v88
	v_fma_f32 v88, v111, 2.0, -v74
	v_fma_f32 v111, v8, 2.0, -v90
	v_sub_f32_e32 v8, v90, v98
	v_fma_f32 v56, v56, 2.0, -v75
	v_sub_f32_e32 v91, v118, v91
	v_sub_f32_e32 v17, v89, v17
	v_fma_f32 v103, v7, 2.0, -v57
	v_add_f32_e32 v7, v57, v75
	v_fma_f32 v75, v12, 2.0, -v62
	v_sub_f32_e32 v18, v93, v56
	v_dual_sub_f32 v61, v13, v61 :: v_dual_sub_f32 v12, v62, v91
	v_fma_f32 v105, v118, 2.0, -v91
	v_fma_f32 v91, v0, 2.0, -v64
	v_sub_f32_e32 v33, v117, v33
	v_dual_sub_f32 v101, v72, v14 :: v_dual_sub_f32 v14, v54, v17
	v_sub_f32_e32 v87, v9, v87
	s_delay_alu instid0(VALU_DEP_4) | instskip(NEXT) | instid1(VALU_DEP_4)
	v_sub_f32_e32 v56, v91, v59
	v_dual_sub_f32 v31, v55, v31 :: v_dual_sub_f32 v4, v68, v33
	v_fma_f32 v86, v110, 2.0, -v54
	v_sub_f32_e32 v19, v120, v19
	v_add_f32_e32 v15, v74, v15
	s_delay_alu instid0(VALU_DEP_4)
	v_sub_f32_e32 v6, v32, v31
	v_fma_f32 v89, v89, 2.0, -v17
	v_fma_f32 v55, v55, 2.0, -v31
	;; [unrolled: 1-line block ×5, first 2 shown]
	v_sub_f32_e32 v11, v88, v89
	v_sub_f32_e32 v60, v92, v66
	v_fma_f32 v112, v9, 2.0, -v87
	v_add_f32_e32 v9, v87, v97
	v_fma_f32 v66, v68, 2.0, -v4
	v_sub_f32_e32 v68, v111, v69
	v_fma_f32 v97, v10, 2.0, -v99
	v_sub_f32_e32 v10, v86, v16
	;; [unrolled: 2-line block ×3, first 2 shown]
	v_sub_f32_e32 v19, v103, v55
	v_fma_f32 v16, v54, 2.0, -v14
	v_fma_f32 v17, v74, 2.0, -v15
	ds_store_2addr_stride64_b64 v46, v[10:11], v[14:15] offset0:8 offset1:12
	v_fma_f32 v10, v86, 2.0, -v10
	v_fma_f32 v11, v88, 2.0, -v11
	;; [unrolled: 1-line block ×3, first 2 shown]
	v_add_f32_e32 v13, v61, v30
	v_fma_f32 v30, v32, 2.0, -v6
	v_fma_f32 v31, v57, 2.0, -v7
	;; [unrolled: 1-line block ×4, first 2 shown]
	ds_store_2addr_stride64_b64 v46, v[10:11], v[16:17] offset1:4
	ds_store_2addr_stride64_b64 v50, v[14:15], v[30:31] offset1:4
	ds_store_2addr_stride64_b64 v50, v[18:19], v[6:7] offset0:8 offset1:12
	v_lshlrev_b32_e32 v14, 8, v116
	v_and_or_b32 v15, 0xe0, v47, v35
	v_fma_f32 v110, v117, 2.0, -v33
	v_dual_sub_f32 v32, v75, v58 :: v_dual_sub_f32 v33, v104, v105
	s_delay_alu instid0(VALU_DEP_4) | instskip(NEXT) | instid1(VALU_DEP_4)
	v_add3_u32 v16, 0, v14, v34
	v_lshlrev_b32_e32 v17, 8, v15
	v_and_or_b32 v18, 0xe0, v45, v77
	v_fma_f32 v72, v72, 2.0, -v101
	v_fma_f32 v73, v73, 2.0, -v102
	;; [unrolled: 1-line block ×4, first 2 shown]
	v_sub_f32_e32 v57, v106, v107
	v_fma_f32 v74, v75, 2.0, -v32
	v_fma_f32 v75, v104, 2.0, -v33
	v_add3_u32 v17, 0, v17, v34
	v_and_or_b32 v19, 0xe0, v44, v36
	ds_store_2addr_stride64_b64 v16, v[32:33], v[12:13] offset0:8 offset1:12
	v_lshlrev_b32_e32 v12, 8, v18
	v_and_or_b32 v18, 0xe0, v26, v37
	v_fma_f32 v109, v5, 2.0, -v96
	v_fma_f32 v67, v67, 2.0, -v63
	v_and_or_b32 v13, 0xe0, v28, v77
	v_dual_sub_f32 v61, v108, v65 :: v_dual_sub_f32 v72, v97, v72
	v_dual_sub_f32 v73, v98, v73 :: v_dual_sub_f32 v10, v99, v102
	v_add_f32_e32 v11, v100, v101
	ds_store_2addr_stride64_b64 v16, v[74:75], v[54:55] offset1:4
	v_lshlrev_b32_e32 v16, 8, v19
	ds_store_2addr_stride64_b64 v17, v[56:57], v[0:1] offset0:8 offset1:12
	v_lshlrev_b32_e32 v1, 8, v18
	v_add_f32_e32 v5, v96, v63
	v_fma_f32 v58, v64, 2.0, -v0
	v_dual_sub_f32 v64, v95, v67 :: v_dual_sub_f32 v65, v109, v110
	v_sub_f32_e32 v69, v112, v71
	v_lshlrev_b32_e32 v13, 8, v13
	v_fma_f32 v62, v70, 2.0, -v2
	v_fma_f32 v63, v94, 2.0, -v3
	;; [unrolled: 1-line block ×11, first 2 shown]
	v_add3_u32 v12, 0, v12, v34
	v_add3_u32 v0, 0, v16, v34
	;; [unrolled: 1-line block ×3, first 2 shown]
	v_fma_f32 v67, v96, 2.0, -v5
	v_fma_f32 v70, v90, 2.0, -v8
	;; [unrolled: 1-line block ×6, first 2 shown]
	v_add3_u32 v13, 0, v13, v34
	ds_store_2addr_stride64_b64 v17, v[86:87], v[58:59] offset1:4
	ds_store_2addr_stride64_b64 v12, v[88:89], v[62:63] offset1:4
	ds_store_2addr_stride64_b64 v12, v[60:61], v[2:3] offset0:8 offset1:12
	ds_store_2addr_stride64_b64 v0, v[90:91], v[66:67] offset1:4
	ds_store_2addr_stride64_b64 v0, v[64:65], v[4:5] offset0:8 offset1:12
	;; [unrolled: 2-line block ×4, first 2 shown]
	global_wb scope:SCOPE_SE
	s_wait_dscnt 0x0
	s_barrier_signal -1
	s_barrier_wait -1
	global_inv scope:SCOPE_SE
	s_wait_alu 0xfffe
	s_and_saveexec_b32 s13, s12
	s_cbranch_execz .LBB0_12
; %bb.11:
	v_and_b32_e32 v50, 31, v85
	v_and_b32_e32 v54, 31, v84
	v_or_b32_e32 v100, 0x60, v85
	v_or_b32_e32 v101, 32, v85
	;; [unrolled: 1-line block ×3, first 2 shown]
	v_mul_u32_u24_e32 v0, 3, v50
	v_mul_u32_u24_e32 v1, 3, v54
	v_or_b32_e32 v103, 32, v84
	v_or_b32_e32 v104, 0x60, v83
	;; [unrolled: 1-line block ×3, first 2 shown]
	v_lshlrev_b32_e32 v16, 3, v0
	v_lshlrev_b32_e32 v17, 3, v1
	s_load_b64 s[0:1], s[0:1], 0x8
	v_mul_lo_u32 v100, v22, v100
	v_mul_lo_u32 v101, v22, v101
	s_clause 0x1
	global_load_b128 v[4:7], v16, s[10:11] offset:240
	global_load_b128 v[0:3], v17, s[10:11] offset:240
	v_and_b32_e32 v55, 31, v83
	v_and_b32_e32 v56, 31, v82
	;; [unrolled: 1-line block ×3, first 2 shown]
	v_mul_lo_u32 v104, v22, v104
	v_mul_lo_u32 v105, v22, v105
	v_mul_u32_u24_e32 v8, 3, v55
	v_mul_lo_u32 v102, v22, v102
	v_mul_lo_u32 v103, v22, v103
	v_or_b32_e32 v83, 32, v83
	v_mul_lo_u32 v29, s2, v29
	v_lshlrev_b32_e32 v34, 3, v8
	v_mul_u32_u24_e32 v8, 3, v56
	v_lshrrev_b32_e32 v119, 5, v104
	v_lshrrev_b32_e32 v130, 5, v105
	v_mul_lo_u32 v83, v22, v83
	global_load_b128 v[12:15], v34, s[10:11] offset:240
	v_lshlrev_b32_e32 v35, 3, v8
	s_clause 0x1
	global_load_b128 v[8:11], v35, s[10:11] offset:240
	global_load_b64 v[30:31], v16, s[10:11] offset:256
	v_mul_u32_u24_e32 v16, 3, v57
	v_and_b32_e32 v58, 31, v80
	global_load_b64 v[32:33], v17, s[10:11] offset:256
	v_lshlrev_b32_e32 v23, 3, v16
	v_mul_u32_u24_e32 v16, 3, v58
	global_load_b128 v[59:62], v23, s[10:11] offset:240
	v_lshlrev_b32_e32 v75, 3, v16
	s_clause 0x2
	global_load_b128 v[16:19], v75, s[10:11] offset:240
	global_load_b64 v[36:37], v34, s[10:11] offset:256
	global_load_b64 v[34:35], v35, s[10:11] offset:256
	ds_load_2addr_stride64_b64 v[63:66], v46 offset0:44 offset1:46
	ds_load_2addr_stride64_b64 v[67:70], v46 offset0:28 offset1:30
	ds_load_2addr_stride64_b64 v[71:74], v46 offset0:40 offset1:42
	ds_load_2addr_stride64_b64 v[84:87], v46 offset0:24 offset1:26
	ds_load_2addr_stride64_b64 v[88:91], v46 offset0:60 offset1:62
	ds_load_2addr_stride64_b64 v[92:95], v46 offset0:36 offset1:38
	ds_load_2addr_stride64_b64 v[96:99], v46 offset0:20 offset1:22
	v_and_b32_e32 v117, 0xff, v104
	v_and_b32_e32 v129, 0xff, v105
	v_and_b32_e32 v122, 0xff, v83
	v_lshrrev_b32_e32 v83, 5, v83
	s_wait_loadcnt_dscnt 0x905
	v_dual_mul_f32 v137, v69, v5 :: v_dual_and_b32 v132, 0x7f8, v119
	v_mul_lo_u32 v107, v22, v54
	s_wait_loadcnt 0x8
	v_mul_f32_e32 v138, v63, v3
	v_mul_f32_e32 v3, v64, v3
	v_or_b32_e32 v109, 64, v54
	v_mul_f32_e32 v136, v65, v7
	s_delay_alu instid0(VALU_DEP_4) | instskip(NEXT) | instid1(VALU_DEP_4)
	v_dual_mul_f32 v7, v66, v7 :: v_dual_fmac_f32 v138, v64, v2
	v_fma_f32 v141, v63, v2, -v3
	v_lshrrev_b32_e32 v116, 5, v107
	v_mul_f32_e32 v2, v68, v1
	v_mul_lo_u32 v106, v22, v50
	v_mul_lo_u32 v118, v22, v109
	v_dual_mul_f32 v142, v67, v1 :: v_dual_and_b32 v109, 0xff, v100
	v_dual_mul_f32 v116, v70, v5 :: v_dual_and_b32 v125, 0x7f8, v116
	v_or_b32_e32 v110, 64, v55
	v_lshrrev_b32_e32 v100, 5, v100
	v_fma_f32 v143, v67, v0, -v2
	s_wait_loadcnt_dscnt 0x704
	v_mul_f32_e32 v144, v73, v15
	v_mul_f32_e32 v2, v74, v15
	v_mul_lo_u32 v126, v22, v110
	s_wait_dscnt 0x3
	v_mul_f32_e32 v15, v86, v13
	v_and_b32_e32 v110, 0xff, v101
	v_lshrrev_b32_e32 v101, 5, v101
	v_mul_lo_u32 v111, v22, v55
	s_wait_loadcnt 0x6
	v_dual_mul_f32 v67, v84, v9 :: v_dual_and_b32 v112, 0xff, v106
	v_lshrrev_b32_e32 v106, 5, v106
	v_dual_fmac_f32 v142, v68, v0 :: v_dual_and_b32 v113, 0xff, v102
	v_lshrrev_b32_e32 v102, 5, v102
	s_delay_alu instid0(VALU_DEP_4)
	v_dual_fmac_f32 v67, v85, v8 :: v_dual_and_b32 v114, 0xff, v103
	v_lshrrev_b32_e32 v103, 5, v103
	v_dual_mul_f32 v0, v87, v13 :: v_dual_and_b32 v115, 0xff, v107
	v_lshlrev_b32_e32 v104, 3, v109
	v_dual_mul_f32 v68, v71, v11 :: v_dual_and_b32 v105, 0x7f8, v100
	v_fmac_f32_e32 v15, v87, v12
	v_lshlrev_b32_e32 v107, 3, v110
	v_and_b32_e32 v109, 0x7f8, v101
	v_dual_fmac_f32 v144, v74, v14 :: v_dual_and_b32 v127, 0xff, v111
	v_lshrrev_b32_e32 v128, 5, v111
	v_and_b32_e32 v111, 0x7f8, v106
	s_wait_loadcnt_dscnt 0x402
	v_dual_mul_f32 v145, v88, v33 :: v_dual_and_b32 v120, 0x7f8, v102
	v_and_b32_e32 v123, 0x7f8, v103
	s_wait_kmcnt 0x0
	s_clause 0x1
	global_load_b64 v[100:101], v104, s[0:1]
	global_load_b64 v[102:103], v105, s[0:1] offset:2048
	v_fma_f32 v14, v73, v14, -v2
	v_mul_f32_e32 v2, v72, v11
	v_fmac_f32_e32 v68, v72, v10
	s_clause 0x1
	global_load_b64 v[104:105], v107, s[0:1]
	global_load_b64 v[106:107], v109, s[0:1] offset:2048
	v_or_b32_e32 v108, 64, v50
	v_lshlrev_b32_e32 v110, 3, v112
	v_lshlrev_b32_e32 v112, 3, v113
	;; [unrolled: 1-line block ×3, first 2 shown]
	v_dual_fmac_f32 v145, v89, v32 :: v_dual_lshlrev_b32 v124, 3, v115
	v_mul_lo_u32 v108, v22, v108
	v_lshlrev_b32_e32 v131, 3, v117
	v_lshlrev_b32_e32 v1, 3, v122
	v_and_b32_e32 v3, 0x7f8, v83
	v_fma_f32 v139, v69, v4, -v116
	v_fmac_f32_e32 v137, v70, v4
	v_fmac_f32_e32 v136, v66, v6
	v_fma_f32 v140, v65, v6, -v7
	v_and_b32_e32 v133, 0xff, v108
	v_lshrrev_b32_e32 v135, 5, v108
	s_clause 0x5
	global_load_b64 v[108:109], v110, s[0:1]
	global_load_b64 v[110:111], v111, s[0:1] offset:2048
	global_load_b64 v[112:113], v112, s[0:1]
	global_load_b64 v[114:115], v120, s[0:1] offset:2048
	;; [unrolled: 2-line block ×3, first 2 shown]
	v_and_b32_e32 v6, 0xff, v118
	v_lshrrev_b32_e32 v7, 5, v118
	s_clause 0x3
	global_load_b64 v[118:119], v124, s[0:1]
	global_load_b64 v[120:121], v125, s[0:1] offset:2048
	global_load_b64 v[122:123], v131, s[0:1]
	global_load_b64 v[124:125], v132, s[0:1] offset:2048
	v_fma_f32 v70, v86, v12, -v0
	s_clause 0x1
	global_load_b64 v[12:13], v1, s[0:1]
	global_load_b64 v[73:74], v3, s[0:1] offset:2048
	v_lshlrev_b32_e32 v3, 3, v127
	v_and_b32_e32 v63, 0x7f8, v128
	v_fma_f32 v69, v71, v10, -v2
	s_clause 0x1
	global_load_b64 v[10:11], v3, s[0:1]
	global_load_b64 v[71:72], v63, s[0:1] offset:2048
	v_mul_f32_e32 v3, v85, v9
	v_lshlrev_b32_e32 v64, 3, v129
	v_and_b32_e32 v2, 0x7f8, v130
	v_lshlrev_b32_e32 v9, 3, v133
	v_lshlrev_b32_e32 v6, 3, v6
	v_fma_f32 v66, v84, v8, -v3
	v_mul_f32_e32 v3, v91, v31
	s_clause 0x1
	global_load_b64 v[83:84], v64, s[0:1]
	global_load_b64 v[85:86], v2, s[0:1] offset:2048
	v_and_b32_e32 v2, 0x7f8, v7
	v_and_b32_e32 v0, 0xff, v126
	v_lshrrev_b32_e32 v1, 5, v126
	v_fma_f32 v146, v90, v30, -v3
	v_or_b32_e32 v134, 64, v56
	s_wait_loadcnt_dscnt 0x1701
	v_dual_mul_f32 v7, v89, v33 :: v_dual_mul_f32 v64, v94, v62
	v_and_b32_e32 v1, 0x7f8, v1
	v_or_b32_e32 v89, 0x60, v80
	v_and_or_b32 v28, 0x80, v28, v54
	s_delay_alu instid0(VALU_DEP_4) | instskip(SKIP_4) | instid1(VALU_DEP_2)
	v_fma_f32 v147, v88, v32, -v7
	v_fmac_f32_e32 v64, v95, v61
	s_wait_loadcnt 0x10
	v_mul_f32_e32 v148, v104, v107
	v_and_b32_e32 v63, 0x7f8, v135
	v_dual_mul_f32 v135, v90, v31 :: v_dual_fmac_f32 v148, v105, v106
	s_clause 0x1
	global_load_b64 v[126:127], v9, s[0:1]
	global_load_b64 v[128:129], v63, s[0:1] offset:2048
	v_fmac_f32_e32 v135, v91, v30
	s_clause 0x1
	global_load_b64 v[30:31], v6, s[0:1]
	global_load_b64 v[90:91], v2, s[0:1] offset:2048
	global_load_b64 v[130:131], v23, s[10:11] offset:256
	s_wait_dscnt 0x0
	v_dual_mul_f32 v23, v98, v60 :: v_dual_mul_f32 v2, v95, v62
	v_or_b32_e32 v6, 32, v82
	s_delay_alu instid0(VALU_DEP_2)
	v_dual_mul_f32 v62, v96, v17 :: v_dual_fmac_f32 v23, v99, v59
	v_lshlrev_b32_e32 v0, 3, v0
	s_clause 0x1
	global_load_b64 v[87:88], v0, s[0:1]
	global_load_b64 v[132:133], v1, s[0:1] offset:2048
	v_mul_lo_u32 v0, v22, v134
	v_mul_f32_e32 v1, v99, v60
	v_fma_f32 v65, v94, v61, -v2
	global_load_b64 v[94:95], v75, s[10:11] offset:256
	v_mul_f32_e32 v75, v100, v103
	v_mul_f32_e32 v2, v93, v19
	v_fma_f32 v60, v98, v59, -v1
	v_mul_f32_e32 v59, v92, v19
	v_and_b32_e32 v1, 0xff, v0
	v_lshrrev_b32_e32 v0, 5, v0
	v_fma_f32 v61, v92, v18, -v2
	v_fmac_f32_e32 v75, v101, v102
	v_fmac_f32_e32 v59, v93, v18
	v_lshlrev_b32_e32 v1, 3, v1
	v_and_b32_e32 v0, 0x7f8, v0
	s_clause 0x1
	global_load_b64 v[18:19], v1, s[0:1]
	global_load_b64 v[92:93], v0, s[0:1] offset:2048
	v_mul_f32_e32 v0, v97, v17
	v_mul_lo_u32 v6, v22, v6
	s_wait_loadcnt 0x18
	v_dual_fmac_f32 v62, v97, v16 :: v_dual_mul_f32 v149, v108, v111
	v_mul_lo_u32 v99, v22, v57
	v_fma_f32 v63, v96, v16, -v0
	ds_load_2addr_stride64_b64 v[0:3], v46 offset0:56 offset1:58
	s_wait_loadcnt 0x14
	v_mul_f32_e32 v151, v4, v117
	v_mul_lo_u32 v98, v22, v56
	v_and_b32_e32 v8, 0xff, v6
	v_lshrrev_b32_e32 v6, 5, v6
	s_wait_loadcnt 0x12
	v_dual_mul_f32 v152, v118, v121 :: v_dual_fmac_f32 v151, v5, v116
	s_wait_loadcnt 0xc
	v_dual_fmac_f32 v149, v109, v110 :: v_dual_mul_f32 v156, v10, v72
	s_wait_loadcnt 0xa
	v_mul_f32_e32 v158, v83, v86
	v_fmac_f32_e32 v152, v119, v120
	s_delay_alu instid0(VALU_DEP_3) | instskip(NEXT) | instid1(VALU_DEP_3)
	v_fmac_f32_e32 v156, v11, v71
	v_fmac_f32_e32 v158, v84, v85
	s_wait_dscnt 0x0
	v_mul_f32_e32 v7, v3, v37
	v_dual_mul_f32 v82, v2, v37 :: v_dual_mul_f32 v9, v1, v35
	v_mul_f32_e32 v32, v0, v35
	s_delay_alu instid0(VALU_DEP_3) | instskip(NEXT) | instid1(VALU_DEP_3)
	v_fma_f32 v134, v2, v36, -v7
	v_dual_fmac_f32 v82, v3, v36 :: v_dual_and_b32 v3, 0x7f8, v6
	s_delay_alu instid0(VALU_DEP_4)
	v_fma_f32 v35, v0, v34, -v9
	v_mul_f32_e32 v0, v101, v103
	v_mul_f32_e32 v6, v105, v107
	v_dual_mul_f32 v7, v109, v111 :: v_dual_lshlrev_b32 v2, 3, v8
	v_fmac_f32_e32 v32, v1, v34
	s_clause 0x1
	global_load_b64 v[33:34], v2, s[0:1]
	global_load_b64 v[96:97], v3, s[0:1] offset:2048
	v_fma_f32 v107, v100, v102, -v0
	ds_load_b64 v[0:1], v53
	ds_load_b64 v[2:3], v52
	;; [unrolled: 1-line block ×4, first 2 shown]
	v_fma_f32 v39, v104, v106, -v6
	v_mul_f32_e32 v106, v112, v115
	v_or_b32_e32 v51, 0x60, v81
	v_or_b32_e32 v53, 32, v81
	v_mul_f32_e32 v81, v5, v117
	v_dual_mul_f32 v5, v119, v121 :: v_dual_mul_f32 v100, v13, v74
	v_fmac_f32_e32 v106, v113, v114
	v_mul_lo_u32 v51, v22, v51
	s_delay_alu instid0(VALU_DEP_4) | instskip(NEXT) | instid1(VALU_DEP_4)
	v_fma_f32 v81, v4, v116, -v81
	v_fma_f32 v153, v118, v120, -v5
	v_mul_f32_e32 v5, v123, v125
	v_mul_f32_e32 v125, v122, v125
	v_or_b32_e32 v4, 64, v57
	v_fma_f32 v150, v108, v110, -v7
	ds_load_2addr_stride64_b64 v[6:9], v46 offset0:52 offset1:54
	v_mul_lo_u32 v53, v22, v53
	v_fma_f32 v154, v122, v124, -v5
	v_dual_fmac_f32 v125, v123, v124 :: v_dual_mul_f32 v124, v12, v74
	v_mul_lo_u32 v108, v22, v89
	v_mul_lo_u32 v4, v22, v4
	v_and_b32_e32 v89, 0xff, v98
	v_lshrrev_b32_e32 v98, 5, v98
	v_dual_fmac_f32 v124, v13, v73 :: v_dual_and_b32 v5, 0xff, v51
	v_fma_f32 v155, v12, v73, -v100
	v_and_b32_e32 v12, 0xff, v99
	v_lshrrev_b32_e32 v13, 5, v99
	v_dual_mul_f32 v99, v11, v72 :: v_dual_and_b32 v72, 0x7f8, v98
	v_lshrrev_b32_e32 v51, 5, v51
	v_and_b32_e32 v74, 0xff, v53
	v_lshrrev_b32_e32 v53, 5, v53
	v_and_b32_e32 v73, 0xff, v108
	v_lshlrev_b32_e32 v89, 3, v89
	v_fma_f32 v157, v10, v71, -v99
	v_dual_mul_f32 v71, v84, v86 :: v_dual_and_b32 v10, 0xff, v4
	v_and_b32_e32 v51, 0x7f8, v51
	v_lshrrev_b32_e32 v4, 5, v4
	v_lshlrev_b32_e32 v11, 3, v74
	v_and_b32_e32 v74, 0x7f8, v53
	v_lshlrev_b32_e32 v12, 3, v12
	v_fma_f32 v159, v83, v85, -v71
	s_clause 0x1
	global_load_b64 v[84:85], v89, s[0:1]
	global_load_b64 v[98:99], v72, s[0:1] offset:2048
	v_and_b32_e32 v13, 0x7f8, v13
	v_lshlrev_b32_e32 v10, 3, v10
	v_and_b32_e32 v4, 0x7f8, v4
	v_mul_f32_e32 v52, v113, v115
	v_or_b32_e32 v109, 64, v58
	s_wait_dscnt 0x1
	v_dual_sub_f32 v69, v36, v69 :: v_dual_sub_f32 v68, v37, v68
	s_delay_alu instid0(VALU_DEP_3)
	v_fma_f32 v52, v112, v114, -v52
	s_wait_loadcnt 0xc
	v_mul_f32_e32 v53, v127, v129
	v_mul_f32_e32 v72, v126, v129
	v_lshlrev_b32_e32 v5, 3, v5
	s_wait_loadcnt 0xa
	v_mul_f32_e32 v71, v31, v91
	v_sub_f32_e32 v129, v16, v14
	v_fma_f32 v83, v126, v128, -v53
	v_fmac_f32_e32 v72, v127, v128
	v_mul_f32_e32 v126, v30, v91
	v_fma_f32 v30, v30, v90, -v71
	v_sub_f32_e32 v14, v143, v147
	s_delay_alu instid0(VALU_DEP_3)
	v_fmac_f32_e32 v126, v31, v90
	v_sub_f32_e32 v31, v3, v138
	s_wait_loadcnt 0x7
	v_mul_f32_e32 v53, v88, v133
	s_wait_dscnt 0x0
	v_dual_mul_f32 v127, v87, v133 :: v_dual_mul_f32 v86, v9, v131
	s_clause 0x3
	global_load_b64 v[89:90], v5, s[0:1]
	global_load_b64 v[100:101], v51, s[0:1] offset:2048
	global_load_b64 v[102:103], v10, s[0:1]
	global_load_b64 v[104:105], v4, s[0:1] offset:2048
	v_dual_sub_f32 v4, v1, v136 :: v_dual_sub_f32 v5, v139, v146
	v_fma_f32 v128, v87, v132, -v53
	v_fmac_f32_e32 v127, v88, v132
	v_mul_f32_e32 v53, v8, v131
	v_fma_f32 v71, v8, v130, -v86
	v_sub_f32_e32 v8, v0, v140
	v_dual_sub_f32 v10, v137, v135 :: v_dual_sub_f32 v51, v2, v141
	v_sub_f32_e32 v88, v17, v144
	v_fma_f32 v120, v1, 2.0, -v4
	s_delay_alu instid0(VALU_DEP_4) | instskip(NEXT) | instid1(VALU_DEP_4)
	v_fma_f32 v132, v0, 2.0, -v8
	v_fma_f32 v91, v137, 2.0, -v10
	v_sub_f32_e32 v10, v8, v10
	v_add_f32_e32 v0, v4, v5
	s_wait_loadcnt 0x8
	v_mul_f32_e32 v87, v19, v93
	v_mul_f32_e32 v131, v18, v93
	v_sub_f32_e32 v86, v142, v145
	v_fma_f32 v5, v139, 2.0, -v5
	v_fma_f32 v135, v2, 2.0, -v51
	;; [unrolled: 1-line block ×3, first 2 shown]
	v_fmac_f32_e32 v131, v19, v92
	v_fma_f32 v16, v143, 2.0, -v14
	v_add_f32_e32 v14, v31, v14
	v_dual_sub_f32 v2, v51, v86 :: v_dual_sub_f32 v139, v132, v5
	v_fma_f32 v138, v18, v92, -v87
	v_mul_f32_e32 v1, v10, v75
	v_mul_f32_e32 v18, v0, v75
	v_sub_f32_e32 v75, v120, v91
	v_fma_f32 v133, v3, 2.0, -v31
	v_mul_f32_e32 v3, v2, v106
	v_fma_f32 v19, v4, 2.0, -v0
	v_dual_mul_f32 v4, v14, v106 :: v_dual_fmac_f32 v1, v0, v107
	v_fma_f32 v8, v8, 2.0, -v10
	v_fma_f32 v0, v10, v107, -v18
	v_dual_mul_f32 v10, v75, v72 :: v_dual_fmac_f32 v53, v9, v130
	v_fma_f32 v136, v17, 2.0, -v88
	v_fma_f32 v17, v142, 2.0, -v86
	;; [unrolled: 1-line block ×3, first 2 shown]
	s_clause 0x1
	global_load_b64 v[86:87], v11, s[0:1]
	global_load_b64 v[91:92], v74, s[0:1] offset:2048
	v_fma_f32 v11, v51, 2.0, -v2
	v_fma_f32 v2, v2, v52, -v4
	v_fmac_f32_e32 v3, v14, v52
	v_fma_f32 v4, v139, v83, -v10
	v_lshrrev_b32_e32 v10, 5, v108
	v_mul_lo_u32 v14, v22, v109
	s_clause 0x1
	global_load_b64 v[106:107], v12, s[0:1]
	global_load_b64 v[108:109], v13, s[0:1] offset:2048
	v_or_b32_e32 v12, 32, v80
	v_dual_mul_f32 v52, v6, v95 :: v_dual_lshlrev_b32 v13, 3, v73
	v_dual_mul_f32 v5, v139, v72 :: v_dual_and_b32 v10, 0x7f8, v10
	s_delay_alu instid0(VALU_DEP_3)
	v_mul_lo_u32 v12, v22, v12
	v_and_b32_e32 v18, 0xff, v14
	s_clause 0x1
	global_load_b64 v[110:111], v13, s[0:1]
	global_load_b64 v[112:113], v10, s[0:1] offset:2048
	v_fmac_f32_e32 v52, v7, v94
	v_lshrrev_b32_e32 v14, 5, v14
	v_fmac_f32_e32 v5, v75, v83
	v_mul_lo_u32 v10, v22, v58
	v_and_b32_e32 v13, 0xff, v12
	v_mul_f32_e32 v9, v7, v95
	v_lshrrev_b32_e32 v12, 5, v12
	v_dual_sub_f32 v16, v135, v16 :: v_dual_sub_f32 v71, v60, v71
	s_delay_alu instid0(VALU_DEP_3)
	v_fma_f32 v51, v6, v94, -v9
	v_lshlrev_b32_e32 v6, 3, v18
	v_and_b32_e32 v9, 0x7f8, v14
	v_dual_sub_f32 v14, v133, v17 :: v_dual_and_b32 v7, 0x7f8, v12
	v_mul_f32_e32 v12, v19, v148
	s_clause 0x1
	global_load_b64 v[93:94], v6, s[0:1]
	global_load_b64 v[114:115], v9, s[0:1] offset:2048
	v_lshlrev_b32_e32 v6, 3, v13
	v_and_b32_e32 v9, 0xff, v10
	v_lshrrev_b32_e32 v10, 5, v10
	s_clause 0x1
	global_load_b64 v[116:117], v6, s[0:1]
	global_load_b64 v[118:119], v7, s[0:1] offset:2048
	v_lshlrev_b32_e32 v9, 3, v9
	v_dual_mul_f32 v7, v8, v148 :: v_dual_and_b32 v10, 0x7f8, v10
	v_fma_f32 v18, v120, 2.0, -v75
	s_clause 0x1
	global_load_b64 v[120:121], v9, s[0:1]
	global_load_b64 v[122:123], v10, s[0:1] offset:2048
	v_fma_f32 v6, v8, v39, -v12
	v_fma_f32 v8, v132, 2.0, -v139
	v_mul_f32_e32 v9, v31, v151
	v_mul_f32_e32 v17, v18, v149
	v_dual_mul_f32 v13, v11, v151 :: v_dual_mul_f32 v10, v14, v126
	global_load_b128 v[72:75], v43, s[10:11] offset:240
	v_fma_f32 v12, v11, v81, -v9
	v_mul_f32_e32 v9, v8, v149
	v_fma_f32 v8, v8, v150, -v17
	v_sub_f32_e32 v17, v70, v134
	v_fmac_f32_e32 v13, v31, v81
	v_fma_f32 v10, v16, v30, -v10
	s_delay_alu instid0(VALU_DEP_3) | instskip(SKIP_4) | instid1(VALU_DEP_3)
	v_fma_f32 v31, v70, 2.0, -v17
	v_mul_f32_e32 v11, v16, v126
	v_fma_f32 v16, v135, 2.0, -v16
	v_and_b32_e32 v70, 31, v78
	s_wait_loadcnt 0x11
	v_dual_mul_f32 v130, v84, v99 :: v_dual_fmac_f32 v11, v14, v30
	v_fma_f32 v30, v133, 2.0, -v14
	v_fmac_f32_e32 v7, v19, v39
	v_sub_f32_e32 v19, v15, v82
	s_delay_alu instid0(VALU_DEP_4) | instskip(NEXT) | instid1(VALU_DEP_4)
	v_dual_add_f32 v39, v88, v17 :: v_dual_fmac_f32 v130, v85, v98
	v_mul_f32_e32 v80, v30, v152
	v_and_or_b32 v49, 0x80, v49, v70
	s_delay_alu instid0(VALU_DEP_4) | instskip(SKIP_2) | instid1(VALU_DEP_2)
	v_fma_f32 v95, v15, 2.0, -v19
	v_sub_f32_e32 v19, v129, v19
	v_mul_f32_e32 v17, v39, v125
	v_mul_f32_e32 v15, v19, v125
	s_delay_alu instid0(VALU_DEP_2)
	v_fma_f32 v14, v19, v154, -v17
	v_mul_f32_e32 v17, v16, v152
	v_fma_f32 v16, v16, v153, -v80
	v_mul_f32_e32 v80, v34, v97
	v_mul_f32_e32 v97, v33, v97
	v_fmac_f32_e32 v15, v39, v154
	v_fmac_f32_e32 v17, v30, v153
	v_fma_f32 v39, v88, 2.0, -v39
	v_fma_f32 v126, v33, v96, -v80
	v_dual_fmac_f32 v97, v34, v96 :: v_dual_sub_f32 v34, v137, v31
	s_wait_loadcnt 0x5
	v_mul_f32_e32 v140, v93, v115
	s_delay_alu instid0(VALU_DEP_1) | instskip(NEXT) | instid1(VALU_DEP_1)
	v_dual_sub_f32 v33, v136, v95 :: v_dual_fmac_f32 v140, v94, v114
	v_dual_mul_f32 v30, v33, v127 :: v_dual_fmac_f32 v9, v18, v150
	v_mul_u32_u24_e32 v18, 3, v70
	s_delay_alu instid0(VALU_DEP_1)
	v_dual_mul_f32 v18, v85, v99 :: v_dual_lshlrev_b32 v125, 3, v18
	v_mul_f32_e32 v85, v90, v101
	v_fma_f32 v99, v36, 2.0, -v69
	s_wait_loadcnt 0x3
	v_mul_f32_e32 v36, v117, v119
	v_mul_f32_e32 v119, v116, v119
	v_fma_f32 v132, v84, v98, -v18
	v_fma_f32 v84, v129, 2.0, -v19
	v_fma_f32 v18, v34, v128, -v30
	v_dual_mul_f32 v30, v39, v124 :: v_dual_mul_f32 v19, v34, v127
	v_fma_f32 v98, v37, 2.0, -v68
	s_delay_alu instid0(VALU_DEP_4) | instskip(SKIP_1) | instid1(VALU_DEP_4)
	v_mul_f32_e32 v31, v84, v124
	v_fma_f32 v142, v116, v118, -v36
	v_fma_f32 v30, v84, v155, -v30
	v_mul_f32_e32 v84, v87, v92
	s_wait_loadcnt 0x1
	v_mul_f32_e32 v36, v121, v123
	v_fma_f32 v127, v89, v100, -v85
	v_fma_f32 v85, v136, 2.0, -v33
	v_mul_f32_e32 v129, v86, v92
	v_fma_f32 v134, v86, v91, -v84
	v_sub_f32_e32 v84, v67, v32
	v_mul_f32_e32 v124, v89, v101
	v_mul_f32_e32 v32, v85, v156
	global_load_b128 v[80:83], v125, s[10:11] offset:240
	v_fmac_f32_e32 v129, v87, v91
	v_mul_f32_e32 v87, v111, v113
	v_fma_f32 v37, v67, 2.0, -v84
	v_fmac_f32_e32 v124, v90, v100
	v_fmac_f32_e32 v19, v33, v128
	v_fma_f32 v34, v137, 2.0, -v34
	v_fma_f32 v139, v110, v112, -v87
	v_mul_f32_e32 v87, v94, v115
	v_sub_f32_e32 v100, v98, v37
	v_or_b32_e32 v37, 0x60, v78
	v_dual_mul_f32 v128, v102, v105 :: v_dual_fmac_f32 v119, v117, v118
	s_delay_alu instid0(VALU_DEP_4) | instskip(SKIP_1) | instid1(VALU_DEP_4)
	v_fma_f32 v141, v93, v114, -v87
	v_mul_f32_e32 v118, v120, v123
	v_mul_lo_u32 v87, v22, v37
	v_fmac_f32_e32 v31, v39, v155
	v_mul_f32_e32 v39, v103, v105
	v_fmac_f32_e32 v128, v103, v104
	v_sub_f32_e32 v86, v66, v35
	v_fma_f32 v120, v120, v122, -v36
	v_mul_f32_e32 v36, v100, v131
	v_fma_f32 v133, v102, v104, -v39
	v_lshrrev_b32_e32 v90, 5, v87
	v_mul_f32_e32 v33, v34, v156
	v_fma_f32 v104, v98, 2.0, -v100
	v_mul_f32_e32 v39, v107, v109
	v_mul_lo_u32 v105, v22, v70
	s_delay_alu instid0(VALU_DEP_4) | instskip(SKIP_1) | instid1(VALU_DEP_4)
	v_dual_fmac_f32 v33, v85, v157 :: v_dual_and_b32 v96, 0x7f8, v90
	v_add_f32_e32 v85, v68, v86
	v_fma_f32 v136, v106, v108, -v39
	v_sub_f32_e32 v39, v69, v84
	v_fma_f32 v32, v34, v157, -v32
	v_fma_f32 v66, v66, 2.0, -v86
	v_dual_mul_f32 v88, v85, v158 :: v_dual_and_b32 v89, 0xff, v87
	s_delay_alu instid0(VALU_DEP_4) | instskip(SKIP_2) | instid1(VALU_DEP_4)
	v_mul_f32_e32 v35, v39, v158
	v_fma_f32 v86, v69, 2.0, -v39
	v_or_b32_e32 v91, 64, v70
	v_fma_f32 v34, v39, v159, -v88
	v_fma_f32 v88, v68, 2.0, -v85
	v_fmac_f32_e32 v35, v85, v159
	ds_load_b64 v[84:85], v38
	v_mul_f32_e32 v39, v86, v97
	v_lshlrev_b32_e32 v94, 3, v89
	v_mul_f32_e32 v38, v88, v97
	v_mul_lo_u32 v102, v22, v91
	v_fmac_f32_e32 v118, v121, v122
	v_fmac_f32_e32 v39, v88, v126
	global_load_b64 v[88:89], v43, s[10:11] offset:256
	v_fma_f32 v38, v86, v126, -v38
	global_load_b64 v[86:87], v125, s[10:11] offset:256
	v_sub_f32_e32 v101, v99, v66
	ds_load_2addr_stride64_b64 v[66:69], v46 offset0:32 offset1:34
	ds_load_b64 v[42:43], v42
	ds_load_b64 v[90:91], v41
	;; [unrolled: 1-line block ×3, first 2 shown]
	v_or_b32_e32 v41, 32, v78
	v_lshrrev_b32_e32 v78, 5, v102
	v_mul_f32_e32 v37, v101, v131
	v_mul_f32_e32 v137, v110, v113
	s_clause 0x1
	global_load_b64 v[94:95], v94, s[0:1]
	global_load_b64 v[96:97], v96, s[0:1] offset:2048
	v_fma_f32 v36, v101, v138, -v36
	v_mul_lo_u32 v70, s3, v24
	s_wait_loadcnt_dscnt 0x504
	v_mul_f32_e32 v40, v73, v85
	v_mul_f32_e32 v121, v73, v84
	v_and_b32_e32 v73, 0xff, v102
	s_delay_alu instid0(VALU_DEP_3) | instskip(SKIP_1) | instid1(VALU_DEP_4)
	v_fma_f32 v123, v72, v84, -v40
	v_mul_lo_u32 v40, v22, v41
	v_fmac_f32_e32 v121, v72, v85
	s_delay_alu instid0(VALU_DEP_4)
	v_lshlrev_b32_e32 v41, 3, v73
	v_and_b32_e32 v73, 0x7f8, v78
	v_mul_f32_e32 v78, v104, v130
	s_wait_dscnt 0x3
	v_mul_f32_e32 v122, v75, v66
	v_mul_f32_e32 v75, v75, v67
	s_wait_dscnt 0x2
	v_dual_sub_f32 v65, v42, v65 :: v_dual_and_b32 v72, 0xff, v40
	v_lshrrev_b32_e32 v40, 5, v40
	v_mul_f32_e32 v135, v106, v109
	v_fmac_f32_e32 v37, v100, v138
	v_fma_f32 v100, v99, 2.0, -v101
	v_fma_f32 v125, v74, v66, -v75
	v_lshlrev_b32_e32 v66, 3, v72
	v_fmac_f32_e32 v122, v74, v67
	v_sub_f32_e32 v64, v43, v64
	v_fmac_f32_e32 v137, v111, v112
	s_clause 0x1
	global_load_b64 v[84:85], v41, s[0:1]
	global_load_b64 v[98:99], v73, s[0:1] offset:2048
	ds_load_2addr_stride64_b64 v[72:75], v46 offset1:18
	s_wait_dscnt 0x2
	v_sub_f32_e32 v61, v90, v61
	v_sub_f32_e32 v51, v63, v51
	v_mul_lo_u32 v112, v22, v77
	s_delay_alu instid0(VALU_DEP_3) | instskip(NEXT) | instid1(VALU_DEP_3)
	v_fma_f32 v90, v90, 2.0, -v61
	v_fma_f32 v63, v63, 2.0, -v51
	s_delay_alu instid0(VALU_DEP_3) | instskip(NEXT) | instid1(VALU_DEP_2)
	v_and_b32_e32 v113, 0xff, v112
	v_sub_f32_e32 v63, v90, v63
	s_wait_loadcnt 0x6
	v_dual_mul_f32 v126, v68, v83 :: v_dual_and_b32 v67, 0x7f8, v40
	v_mul_f32_e32 v41, v100, v130
	v_fma_f32 v40, v100, v132, -v78
	s_clause 0x1
	global_load_b64 v[100:101], v66, s[0:1]
	global_load_b64 v[102:103], v67, s[0:1] offset:2048
	v_mul_lo_u32 v66, v22, v24
	v_and_b32_e32 v78, 0xff, v105
	v_lshrrev_b32_e32 v67, 5, v105
	v_fmac_f32_e32 v135, v107, v108
	v_fmac_f32_e32 v41, v104, v132
	s_wait_dscnt 0x0
	v_dual_mul_f32 v131, v74, v81 :: v_dual_lshlrev_b32 v78, 3, v78
	v_and_b32_e32 v67, 0x7f8, v67
	v_and_b32_e32 v108, 0xff, v66
	v_lshrrev_b32_e32 v66, 5, v66
	s_clause 0x1
	global_load_b64 v[104:105], v78, s[0:1]
	global_load_b64 v[106:107], v67, s[0:1] offset:2048
	v_fma_f32 v67, v43, 2.0, -v64
	v_fma_f32 v78, v42, 2.0, -v65
	v_dual_mul_f32 v66, v69, v83 :: v_dual_and_b32 v43, 0x7f8, v66
	v_mul_lo_u32 v83, v22, v20
	v_lshlrev_b32_e32 v42, 3, v108
	s_clause 0x1
	global_load_b64 v[108:109], v42, s[0:1]
	global_load_b64 v[110:111], v43, s[0:1] offset:2048
	v_fma_f32 v130, v68, v82, -v66
	v_mul_lo_u32 v66, v22, v79
	v_sub_f32_e32 v43, v23, v53
	v_dual_mul_f32 v53, v75, v81 :: v_dual_and_b32 v68, 0xff, v83
	v_fmac_f32_e32 v126, v69, v82
	v_lshrrev_b32_e32 v69, 5, v83
	v_fmac_f32_e32 v131, v75, v80
	s_delay_alu instid0(VALU_DEP_4)
	v_fma_f32 v132, v74, v80, -v53
	v_lshlrev_b32_e32 v53, 3, v68
	v_and_b32_e32 v80, 0xff, v66
	v_and_b32_e32 v74, 0x7f8, v69
	v_lshrrev_b32_e32 v66, 5, v66
	s_clause 0x1
	global_load_b64 v[68:69], v53, s[0:1]
	global_load_b64 v[74:75], v74, s[0:1] offset:2048
	v_lshlrev_b32_e32 v53, 3, v80
	v_and_b32_e32 v66, 0x7f8, v66
	s_clause 0x1
	global_load_b64 v[80:81], v53, s[0:1]
	global_load_b64 v[82:83], v66, s[0:1] offset:2048
	v_lshrrev_b32_e32 v53, 5, v112
	v_lshlrev_b32_e32 v66, 3, v113
	v_sub_f32_e32 v116, v65, v43
	v_add_f32_e32 v42, v64, v71
	v_fma_f32 v43, v23, 2.0, -v43
	v_and_b32_e32 v53, 0x7f8, v53
	s_clause 0x1
	global_load_b64 v[112:113], v66, s[0:1]
	global_load_b64 v[114:115], v53, s[0:1] offset:2048
	v_mul_f32_e32 v23, v116, v124
	v_mul_f32_e32 v22, v42, v124
	v_fma_f32 v64, v64, 2.0, -v42
	v_fma_f32 v53, v65, 2.0, -v116
	v_sub_f32_e32 v65, v67, v43
	v_fmac_f32_e32 v23, v42, v127
	v_fma_f32 v42, v60, 2.0, -v71
	v_mul_f32_e32 v60, v64, v129
	v_fma_f32 v22, v116, v127, -v22
	v_fma_f32 v71, v67, 2.0, -v65
	s_delay_alu instid0(VALU_DEP_4) | instskip(NEXT) | instid1(VALU_DEP_4)
	v_dual_mul_f32 v117, v53, v129 :: v_dual_sub_f32 v66, v78, v42
	v_fma_f32 v116, v53, v134, -v60
	v_mul_f32_e32 v42, v65, v128
	s_delay_alu instid0(VALU_DEP_3) | instskip(NEXT) | instid1(VALU_DEP_4)
	v_dual_sub_f32 v124, v91, v59 :: v_dual_fmac_f32 v117, v64, v134
	v_mul_f32_e32 v43, v66, v128
	v_fma_f32 v60, v78, 2.0, -v66
	s_delay_alu instid0(VALU_DEP_4) | instskip(NEXT) | instid1(VALU_DEP_4)
	v_fma_f32 v42, v66, v133, -v42
	v_dual_sub_f32 v78, v62, v52 :: v_dual_add_f32 v51, v124, v51
	s_delay_alu instid0(VALU_DEP_4) | instskip(SKIP_2) | instid1(VALU_DEP_4)
	v_fmac_f32_e32 v43, v65, v133
	v_mul_f32_e32 v65, v71, v135
	v_mul_f32_e32 v53, v60, v135
	v_sub_f32_e32 v59, v61, v78
	v_fma_f32 v62, v62, 2.0, -v78
	v_mul_f32_e32 v78, v51, v137
	v_fma_f32 v52, v60, v136, -v65
	ds_load_2addr_stride64_b64 v[64:67], v46 offset0:48 offset1:50
	v_fma_f32 v46, v91, 2.0, -v124
	v_mul_f32_e32 v60, v59, v137
	v_fmac_f32_e32 v53, v71, v136
	v_fma_f32 v127, v61, 2.0, -v59
	v_fma_f32 v59, v59, v139, -v78
	s_delay_alu instid0(VALU_DEP_4) | instskip(SKIP_1) | instid1(VALU_DEP_4)
	v_dual_sub_f32 v71, v46, v62 :: v_dual_fmac_f32 v60, v51, v139
	v_fma_f32 v51, v124, 2.0, -v51
	v_mul_f32_e32 v91, v127, v119
	v_mul_f32_e32 v62, v63, v140
	s_delay_alu instid0(VALU_DEP_4) | instskip(NEXT) | instid1(VALU_DEP_4)
	v_dual_mul_f32 v61, v71, v140 :: v_dual_sub_f32 v124, v92, v130
	v_mul_f32_e32 v119, v51, v119
	s_delay_alu instid0(VALU_DEP_4) | instskip(SKIP_1) | instid1(VALU_DEP_4)
	v_fmac_f32_e32 v91, v51, v142
	v_fma_f32 v51, v90, 2.0, -v63
	v_fma_f32 v61, v63, v141, -v61
	v_fmac_f32_e32 v62, v71, v141
	v_fma_f32 v90, v127, v142, -v119
	s_wait_loadcnt_dscnt 0x1000
	v_dual_sub_f32 v119, v93, v126 :: v_dual_mul_f32 v78, v66, v87
	v_mul_f32_e32 v87, v67, v87
	v_fma_f32 v46, v46, 2.0, -v71
	s_wait_loadcnt 0xe
	v_mul_f32_e32 v71, v95, v97
	v_fma_f32 v93, v93, 2.0, -v119
	v_fmac_f32_e32 v78, v67, v86
	v_fma_f32 v63, v66, v86, -v87
	v_mul_f32_e32 v86, v46, v118
	v_fma_f32 v71, v94, v96, -v71
	v_mul_f32_e32 v67, v51, v118
	v_sub_f32_e32 v66, v131, v78
	v_dual_mul_f32 v78, v94, v97 :: v_dual_sub_f32 v63, v132, v63
	s_lshl_b64 s[0:1], s[6:7], 3
	s_delay_alu instid0(VALU_DEP_3) | instskip(NEXT) | instid1(VALU_DEP_2)
	v_fmac_f32_e32 v67, v46, v120
	v_dual_sub_f32 v97, v124, v66 :: v_dual_fmac_f32 v78, v95, v96
	s_delay_alu instid0(VALU_DEP_3)
	v_add_f32_e32 v95, v119, v63
	v_fma_f32 v94, v131, 2.0, -v66
	v_fma_f32 v66, v51, v120, -v86
	s_wait_loadcnt 0xc
	v_mul_f32_e32 v51, v85, v99
	v_mul_f32_e32 v87, v97, v78
	v_mul_f32_e32 v78, v95, v78
	v_fma_f32 v63, v132, 2.0, -v63
	v_sub_f32_e32 v46, v93, v94
	v_fma_f32 v51, v84, v98, -v51
	v_fmac_f32_e32 v87, v95, v71
	v_fma_f32 v86, v97, v71, -v78
	v_fma_f32 v71, v92, 2.0, -v124
	v_mul_f32_e32 v78, v84, v99
	v_mul_f32_e32 v92, v65, v89
	;; [unrolled: 1-line block ×3, first 2 shown]
	v_sub_f32_e32 v99, v73, v122
	s_delay_alu instid0(VALU_DEP_4) | instskip(NEXT) | instid1(VALU_DEP_4)
	v_dual_sub_f32 v89, v71, v63 :: v_dual_fmac_f32 v78, v85, v98
	v_fma_f32 v92, v88, v64, -v92
	s_delay_alu instid0(VALU_DEP_4) | instskip(SKIP_1) | instid1(VALU_DEP_4)
	v_fmac_f32_e32 v84, v65, v88
	v_fma_f32 v88, v124, 2.0, -v97
	v_fma_f32 v71, v71, 2.0, -v89
	v_mul_f32_e32 v63, v46, v78
	v_mul_f32_e32 v64, v89, v78
	v_fma_f32 v78, v119, 2.0, -v95
	v_sub_f32_e32 v92, v123, v92
	v_sub_f32_e32 v96, v72, v125
	v_fma_f32 v63, v89, v51, -v63
	v_fmac_f32_e32 v64, v46, v51
	v_fma_f32 v46, v93, 2.0, -v46
	v_sub_f32_e32 v97, v121, v84
	v_fma_f32 v73, v73, 2.0, -v99
	s_add_nc_u64 s[0:1], s[8:9], s[0:1]
	s_wait_loadcnt 0xa
	v_mul_f32_e32 v94, v100, v103
	v_mul_f32_e32 v65, v101, v103
	s_delay_alu instid0(VALU_DEP_2) | instskip(NEXT) | instid1(VALU_DEP_2)
	v_fmac_f32_e32 v94, v101, v102
	v_fma_f32 v65, v100, v102, -v65
	v_add_f32_e32 v102, v99, v92
	v_sub_f32_e32 v100, v96, v97
	s_delay_alu instid0(VALU_DEP_4) | instskip(SKIP_3) | instid1(VALU_DEP_3)
	v_mul_f32_e32 v85, v88, v94
	s_wait_loadcnt 0x8
	v_dual_mul_f32 v94, v78, v94 :: v_dual_mul_f32 v95, v104, v107
	v_mul_f32_e32 v51, v105, v107
	v_fmac_f32_e32 v85, v78, v65
	s_delay_alu instid0(VALU_DEP_3) | instskip(NEXT) | instid1(VALU_DEP_3)
	v_fmac_f32_e32 v95, v105, v106
	v_fma_f32 v51, v104, v106, -v51
	s_delay_alu instid0(VALU_DEP_2) | instskip(SKIP_4) | instid1(VALU_DEP_3)
	v_mul_f32_e32 v89, v71, v95
	s_wait_loadcnt 0x6
	v_mul_f32_e32 v98, v108, v111
	v_mul_f32_e32 v84, v109, v111
	;; [unrolled: 1-line block ×3, first 2 shown]
	v_dual_fmac_f32 v89, v46, v51 :: v_dual_fmac_f32 v98, v109, v110
	s_delay_alu instid0(VALU_DEP_3) | instskip(SKIP_1) | instid1(VALU_DEP_4)
	v_fma_f32 v101, v108, v110, -v84
	v_fma_f32 v84, v88, v65, -v94
	;; [unrolled: 1-line block ×3, first 2 shown]
	v_fma_f32 v51, v72, 2.0, -v96
	v_mul_f32_e32 v46, v102, v98
	v_fma_f32 v71, v121, 2.0, -v97
	v_fma_f32 v65, v123, 2.0, -v92
	;; [unrolled: 1-line block ×3, first 2 shown]
	v_mul_f32_e32 v93, v100, v98
	v_fma_f32 v92, v100, v101, -v46
	s_wait_loadcnt 0x4
	v_mul_f32_e32 v72, v69, v75
	v_mul_f32_e32 v94, v68, v75
	v_sub_f32_e32 v95, v73, v71
	v_sub_f32_e32 v65, v51, v65
	v_fmac_f32_e32 v93, v102, v101
	v_fma_f32 v68, v68, v74, -v72
	s_wait_loadcnt 0x2
	v_mul_f32_e32 v46, v80, v83
	v_mad_co_u64_u32 v[71:72], null, s4, v76, 0
	v_fmac_f32_e32 v94, v69, v74
	v_mul_f32_e32 v74, v81, v83
	v_fma_f32 v83, v96, 2.0, -v100
	v_fmac_f32_e32 v46, v81, v82
	v_fma_f32 v96, v73, 2.0, -v95
	v_fma_f32 v51, v51, 2.0, -v65
	v_fma_f32 v80, v80, v82, -v74
	s_wait_loadcnt 0x0
	v_dual_mul_f32 v75, v113, v115 :: v_dual_mul_f32 v74, v83, v46
	v_dual_mul_f32 v81, v97, v46 :: v_dual_mov_b32 v46, v72
	v_mul_f32_e32 v82, v112, v115
	s_delay_alu instid0(VALU_DEP_3) | instskip(NEXT) | instid1(VALU_DEP_4)
	v_fma_f32 v98, v112, v114, -v75
	v_fmac_f32_e32 v74, v97, v80
	v_mul_f32_e32 v69, v65, v94
	v_mad_co_u64_u32 v[72:73], null, s5, v76, v[46:47]
	v_mul_lo_u32 v46, s3, v77
	v_mad_co_u64_u32 v[75:76], null, s2, v77, 0
	v_fma_f32 v73, v83, v80, -v81
	v_mul_lo_u32 v81, s2, v27
	v_fmac_f32_e32 v82, v113, v114
	v_lshlrev_b64_e32 v[71:72], 3, v[71:72]
	v_mul_f32_e32 v94, v95, v94
	v_fmac_f32_e32 v69, v95, v68
	v_add3_u32 v76, v76, v29, v46
	v_mul_lo_u32 v46, s3, v79
	v_mad_co_u64_u32 v[79:80], null, s2, v79, 0
	v_add_co_u32 v27, vcc_lo, s0, v71
	s_delay_alu instid0(VALU_DEP_4)
	v_lshlrev_b64_e32 v[75:76], 3, v[75:76]
	v_mul_f32_e32 v77, v96, v82
	s_wait_alu 0xfffd
	v_add_co_ci_u32_e32 v29, vcc_lo, s1, v72, vcc_lo
	v_add3_u32 v80, v80, v81, v46
	v_mul_f32_e32 v78, v51, v82
	v_add_co_u32 v71, vcc_lo, v27, v75
	v_fma_f32 v77, v51, v98, -v77
	s_wait_alu 0xfffd
	v_add_co_ci_u32_e32 v72, vcc_lo, v29, v76, vcc_lo
	v_lshlrev_b64_e32 v[75:76], 3, v[79:80]
	v_mul_lo_u32 v46, s3, v20
	v_mul_lo_u32 v51, s2, v21
	v_mad_co_u64_u32 v[20:21], null, s2, v20, 0
	v_mad_co_u64_u32 v[79:80], null, s2, v49, 0
	v_mul_lo_u32 v81, s2, v25
	v_mad_co_u64_u32 v[24:25], null, s2, v24, 0
	v_add_co_u32 v75, vcc_lo, v27, v75
	v_fmac_f32_e32 v78, v96, v98
	v_add3_u32 v21, v21, v51, v46
	v_mov_b32_e32 v46, v80
	s_wait_alu 0xfffd
	v_add_co_ci_u32_e32 v76, vcc_lo, v29, v76, vcc_lo
	v_or_b32_e32 v51, 32, v49
	s_clause 0x1
	global_store_b64 v[71:72], v[77:78], off
	global_store_b64 v[75:76], v[73:74], off
	v_add3_u32 v25, v25, v81, v70
	v_mad_co_u64_u32 v[70:71], null, s3, v49, v[46:47]
	v_mad_co_u64_u32 v[71:72], null, s2, v51, 0
	v_fma_f32 v68, v65, v68, -v94
	v_or_b32_e32 v65, 64, v49
	v_lshlrev_b64_e32 v[20:21], 3, v[20:21]
	v_lshlrev_b64_e32 v[24:25], 3, v[24:25]
	v_mov_b32_e32 v80, v70
	v_or_b32_e32 v49, 0x60, v49
	v_mov_b32_e32 v46, v72
	v_mad_co_u64_u32 v[73:74], null, s2, v65, 0
	v_add_co_u32 v20, vcc_lo, v27, v20
	v_lshlrev_b64_e32 v[75:76], 3, v[79:80]
	s_wait_alu 0xfffd
	v_add_co_ci_u32_e32 v21, vcc_lo, v29, v21, vcc_lo
	v_mad_co_u64_u32 v[77:78], null, s3, v51, v[46:47]
	v_add_co_u32 v24, vcc_lo, v27, v24
	v_mad_co_u64_u32 v[78:79], null, s2, v49, 0
	s_wait_alu 0xfffd
	v_add_co_ci_u32_e32 v25, vcc_lo, v29, v25, vcc_lo
	v_mov_b32_e32 v46, v74
	v_add_co_u32 v74, vcc_lo, v27, v75
	s_wait_alu 0xfffd
	v_add_co_ci_u32_e32 v75, vcc_lo, v29, v76, vcc_lo
	s_delay_alu instid0(VALU_DEP_3)
	v_mad_co_u64_u32 v[80:81], null, s3, v65, v[46:47]
	s_clause 0x2
	global_store_b64 v[20:21], v[68:69], off
	global_store_b64 v[24:25], v[92:93], off
	;; [unrolled: 1-line block ×3, first 2 shown]
	v_mov_b32_e32 v20, v79
	v_and_or_b32 v46, 0x80, v48, v58
	v_mov_b32_e32 v72, v77
	v_and_or_b32 v65, 0x80, v47, v57
	s_delay_alu instid0(VALU_DEP_4) | instskip(NEXT) | instid1(VALU_DEP_4)
	v_mad_co_u64_u32 v[20:21], null, s3, v49, v[20:21]
	v_mad_co_u64_u32 v[48:49], null, s2, v46, 0
	v_or_b32_e32 v51, 32, v46
	v_mov_b32_e32 v74, v80
	v_lshlrev_b64_e32 v[24:25], 3, v[71:72]
	v_or_b32_e32 v58, 64, v46
	v_mov_b32_e32 v79, v20
	v_mad_co_u64_u32 v[70:71], null, s2, v51, 0
	v_mov_b32_e32 v20, v49
	v_lshlrev_b64_e32 v[68:69], 3, v[73:74]
	v_mad_co_u64_u32 v[74:75], null, s2, v58, 0
	v_add_co_u32 v24, vcc_lo, v27, v24
	s_delay_alu instid0(VALU_DEP_4)
	v_mad_co_u64_u32 v[20:21], null, s3, v46, v[20:21]
	v_lshlrev_b64_e32 v[72:73], 3, v[78:79]
	v_mov_b32_e32 v21, v71
	s_wait_alu 0xfffd
	v_add_co_ci_u32_e32 v25, vcc_lo, v29, v25, vcc_lo
	v_add_co_u32 v68, vcc_lo, v27, v68
	s_wait_alu 0xfffd
	v_add_co_ci_u32_e32 v69, vcc_lo, v29, v69, vcc_lo
	v_add_co_u32 v71, vcc_lo, v27, v72
	v_mad_co_u64_u32 v[76:77], null, s3, v51, v[21:22]
	v_dual_mov_b32 v49, v20 :: v_dual_mov_b32 v20, v75
	v_or_b32_e32 v51, 0x60, v46
	s_wait_alu 0xfffd
	v_add_co_ci_u32_e32 v72, vcc_lo, v29, v73, vcc_lo
	s_clause 0x2
	global_store_b64 v[24:25], v[84:85], off
	global_store_b64 v[68:69], v[63:64], off
	;; [unrolled: 1-line block ×3, first 2 shown]
	v_lshlrev_b64_e32 v[24:25], 3, v[48:49]
	v_mad_co_u64_u32 v[20:21], null, s3, v58, v[20:21]
	v_mad_co_u64_u32 v[48:49], null, s2, v51, 0
	v_or_b32_e32 v72, 32, v65
	v_mov_b32_e32 v71, v76
	v_mad_co_u64_u32 v[57:58], null, s2, v65, 0
	v_mov_b32_e32 v75, v20
	s_delay_alu instid0(VALU_DEP_4) | instskip(SKIP_4) | instid1(VALU_DEP_4)
	v_mad_co_u64_u32 v[68:69], null, s2, v72, 0
	v_mov_b32_e32 v20, v49
	v_lshlrev_b64_e32 v[46:47], 3, v[70:71]
	v_add_co_u32 v24, vcc_lo, v27, v24
	v_lshlrev_b64_e32 v[63:64], 3, v[74:75]
	v_mad_co_u64_u32 v[20:21], null, s3, v51, v[20:21]
	v_mov_b32_e32 v21, v58
	s_wait_alu 0xfffd
	v_add_co_ci_u32_e32 v25, vcc_lo, v29, v25, vcc_lo
	v_add_co_u32 v46, vcc_lo, v27, v46
	s_wait_alu 0xfffd
	v_add_co_ci_u32_e32 v47, vcc_lo, v29, v47, vcc_lo
	v_dual_mov_b32 v49, v20 :: v_dual_mov_b32 v20, v69
	v_mad_co_u64_u32 v[70:71], null, s3, v65, v[21:22]
	v_add_co_u32 v63, vcc_lo, v27, v63
	v_or_b32_e32 v51, 64, v65
	s_wait_alu 0xfffd
	v_add_co_ci_u32_e32 v64, vcc_lo, v29, v64, vcc_lo
	v_mad_co_u64_u32 v[20:21], null, s3, v72, v[20:21]
	s_clause 0x2
	global_store_b64 v[24:25], v[66:67], off
	global_store_b64 v[46:47], v[90:91], off
	global_store_b64 v[63:64], v[61:62], off
	v_mad_co_u64_u32 v[46:47], null, s2, v51, 0
	v_mov_b32_e32 v58, v70
	v_lshlrev_b64_e32 v[24:25], 3, v[48:49]
	v_or_b32_e32 v65, 0x60, v65
	v_mov_b32_e32 v69, v20
	v_and_or_b32 v67, 0x80, v45, v56
	v_lshlrev_b64_e32 v[48:49], 3, v[57:58]
	v_mov_b32_e32 v20, v47
	v_add_co_u32 v24, vcc_lo, v27, v24
	v_lshlrev_b64_e32 v[61:62], 3, v[68:69]
	s_wait_alu 0xfffd
	v_add_co_ci_u32_e32 v25, vcc_lo, v29, v25, vcc_lo
	v_mad_co_u64_u32 v[57:58], null, s2, v65, 0
	v_add_co_u32 v48, vcc_lo, v27, v48
	v_mad_co_u64_u32 v[20:21], null, s3, v51, v[20:21]
	v_mad_co_u64_u32 v[63:64], null, s2, v67, 0
	s_wait_alu 0xfffd
	v_add_co_ci_u32_e32 v49, vcc_lo, v29, v49, vcc_lo
	v_add_co_u32 v61, vcc_lo, v27, v61
	s_wait_alu 0xfffd
	v_add_co_ci_u32_e32 v62, vcc_lo, v29, v62, vcc_lo
	v_mov_b32_e32 v21, v58
	v_mov_b32_e32 v47, v20
	s_clause 0x2
	global_store_b64 v[24:25], v[59:60], off
	global_store_b64 v[48:49], v[52:53], off
	global_store_b64 v[61:62], v[116:117], off
	v_mov_b32_e32 v20, v64
	v_or_b32_e32 v49, 32, v67
	v_mad_co_u64_u32 v[65:66], null, s3, v65, v[21:22]
	v_lshlrev_b64_e32 v[24:25], 3, v[46:47]
	s_delay_alu instid0(VALU_DEP_4) | instskip(NEXT) | instid1(VALU_DEP_4)
	v_mad_co_u64_u32 v[20:21], null, s3, v67, v[20:21]
	v_mad_co_u64_u32 v[45:46], null, s2, v49, 0
	v_or_b32_e32 v60, 64, v67
	v_mov_b32_e32 v58, v65
	v_or_b32_e32 v61, 0x60, v67
	v_add_co_u32 v24, vcc_lo, v27, v24
	v_mov_b32_e32 v64, v20
	v_mov_b32_e32 v20, v46
	v_lshlrev_b64_e32 v[47:48], 3, v[57:58]
	v_mad_co_u64_u32 v[51:52], null, s2, v60, 0
	s_delay_alu instid0(VALU_DEP_4) | instskip(NEXT) | instid1(VALU_DEP_4)
	v_lshlrev_b64_e32 v[56:57], 3, v[63:64]
	v_mad_co_u64_u32 v[20:21], null, s3, v49, v[20:21]
	s_wait_alu 0xfffd
	v_add_co_ci_u32_e32 v25, vcc_lo, v29, v25, vcc_lo
	v_add_co_u32 v47, vcc_lo, v27, v47
	v_mad_co_u64_u32 v[58:59], null, s2, v61, 0
	s_wait_alu 0xfffd
	v_add_co_ci_u32_e32 v48, vcc_lo, v29, v48, vcc_lo
	v_mov_b32_e32 v21, v52
	v_add_co_u32 v52, vcc_lo, v27, v56
	v_mov_b32_e32 v46, v20
	s_wait_alu 0xfffd
	v_add_co_ci_u32_e32 v53, vcc_lo, v29, v57, vcc_lo
	v_mad_co_u64_u32 v[56:57], null, s3, v60, v[21:22]
	s_clause 0x2
	global_store_b64 v[24:25], v[42:43], off
	global_store_b64 v[47:48], v[22:23], off
	;; [unrolled: 1-line block ×3, first 2 shown]
	v_lshlrev_b64_e32 v[21:22], 3, v[45:46]
	v_mov_b32_e32 v20, v59
	v_and_or_b32 v53, 0x80, v44, v55
	v_mov_b32_e32 v52, v56
	s_delay_alu instid0(VALU_DEP_3) | instskip(NEXT) | instid1(VALU_DEP_3)
	v_mad_co_u64_u32 v[23:24], null, s3, v61, v[20:21]
	v_mad_co_u64_u32 v[24:25], null, s2, v53, 0
	v_or_b32_e32 v48, 32, v53
	v_add_co_u32 v20, vcc_lo, v27, v21
	s_wait_alu 0xfffd
	v_add_co_ci_u32_e32 v21, vcc_lo, v29, v22, vcc_lo
	s_delay_alu instid0(VALU_DEP_3) | instskip(SKIP_3) | instid1(VALU_DEP_3)
	v_mad_co_u64_u32 v[42:43], null, s2, v48, 0
	v_dual_mov_b32 v22, v25 :: v_dual_mov_b32 v59, v23
	v_lshlrev_b64_e32 v[40:41], 3, v[51:52]
	v_or_b32_e32 v51, 64, v53
	v_mad_co_u64_u32 v[22:23], null, s3, v53, v[22:23]
	s_delay_alu instid0(VALU_DEP_4)
	v_lshlrev_b64_e32 v[44:45], 3, v[58:59]
	v_mov_b32_e32 v23, v43
	v_add_co_u32 v40, vcc_lo, v27, v40
	v_mad_co_u64_u32 v[46:47], null, s2, v51, 0
	s_wait_alu 0xfffd
	v_add_co_ci_u32_e32 v41, vcc_lo, v29, v41, vcc_lo
	v_add_co_u32 v43, vcc_lo, v27, v44
	v_mov_b32_e32 v25, v22
	v_mad_co_u64_u32 v[48:49], null, s3, v48, v[23:24]
	s_wait_alu 0xfffd
	v_add_co_ci_u32_e32 v44, vcc_lo, v29, v45, vcc_lo
	s_clause 0x2
	global_store_b64 v[20:21], v[38:39], off
	global_store_b64 v[40:41], v[36:37], off
	;; [unrolled: 1-line block ×3, first 2 shown]
	v_lshlrev_b64_e32 v[21:22], 3, v[24:25]
	v_dual_mov_b32 v20, v47 :: v_dual_mov_b32 v43, v48
	v_or_b32_e32 v40, 0x60, v53
	v_or_b32_e32 v44, 64, v28
	s_delay_alu instid0(VALU_DEP_3) | instskip(NEXT) | instid1(VALU_DEP_4)
	v_mad_co_u64_u32 v[23:24], null, s3, v51, v[20:21]
	v_lshlrev_b64_e32 v[34:35], 3, v[42:43]
	v_or_b32_e32 v43, 32, v28
	v_mad_co_u64_u32 v[24:25], null, s2, v40, 0
	v_add_co_u32 v20, vcc_lo, v27, v21
	s_wait_alu 0xfffd
	v_add_co_ci_u32_e32 v21, vcc_lo, v29, v22, vcc_lo
	v_mov_b32_e32 v47, v23
	v_mad_co_u64_u32 v[22:23], null, s2, v28, 0
	v_mad_co_u64_u32 v[36:37], null, s2, v43, 0
	s_delay_alu instid0(VALU_DEP_3)
	v_lshlrev_b64_e32 v[38:39], 3, v[46:47]
	v_mad_co_u64_u32 v[40:41], null, s3, v40, v[25:26]
	v_add_co_u32 v34, vcc_lo, v27, v34
	v_mad_co_u64_u32 v[41:42], null, s3, v28, v[23:24]
	v_mov_b32_e32 v23, v37
	s_wait_alu 0xfffd
	v_add_co_ci_u32_e32 v35, vcc_lo, v29, v35, vcc_lo
	v_add_co_u32 v37, vcc_lo, v27, v38
	s_wait_alu 0xfffd
	v_add_co_ci_u32_e32 v38, vcc_lo, v29, v39, vcc_lo
	v_mov_b32_e32 v25, v40
	v_mad_co_u64_u32 v[39:40], null, s3, v43, v[23:24]
	v_mov_b32_e32 v23, v41
	v_mad_co_u64_u32 v[42:43], null, s2, v44, 0
	s_clause 0x1
	global_store_b64 v[20:21], v[32:33], off
	global_store_b64 v[34:35], v[30:31], off
	v_lshlrev_b64_e32 v[20:21], 3, v[24:25]
	global_store_b64 v[37:38], v[18:19], off
	v_mov_b32_e32 v37, v39
	v_lshlrev_b64_e32 v[18:19], 3, v[22:23]
	v_or_b32_e32 v28, 0x60, v28
	v_mov_b32_e32 v22, v43
	v_add_co_u32 v20, vcc_lo, v27, v20
	v_lshlrev_b64_e32 v[23:24], 3, v[36:37]
	s_wait_alu 0xfffd
	v_add_co_ci_u32_e32 v21, vcc_lo, v29, v21, vcc_lo
	v_add_co_u32 v18, vcc_lo, v27, v18
	s_wait_alu 0xfffd
	v_add_co_ci_u32_e32 v19, vcc_lo, v29, v19, vcc_lo
	v_mad_co_u64_u32 v[30:31], null, s3, v44, v[22:23]
	v_add_co_u32 v22, vcc_lo, v27, v23
	v_and_or_b32 v26, 0x80, v26, v50
	s_wait_alu 0xfffd
	v_add_co_ci_u32_e32 v23, vcc_lo, v29, v24, vcc_lo
	v_mad_co_u64_u32 v[24:25], null, s2, v28, 0
	s_clause 0x2
	global_store_b64 v[20:21], v[14:15], off
	global_store_b64 v[18:19], v[16:17], off
	;; [unrolled: 1-line block ×3, first 2 shown]
	v_or_b32_e32 v22, 32, v26
	v_mov_b32_e32 v43, v30
	v_mad_co_u64_u32 v[14:15], null, s2, v26, 0
	s_delay_alu instid0(VALU_DEP_3) | instskip(SKIP_1) | instid1(VALU_DEP_4)
	v_mad_co_u64_u32 v[17:18], null, s2, v22, 0
	v_mov_b32_e32 v16, v25
	v_lshlrev_b64_e32 v[12:13], 3, v[42:43]
	s_delay_alu instid0(VALU_DEP_2) | instskip(SKIP_2) | instid1(VALU_DEP_4)
	v_mad_co_u64_u32 v[19:20], null, s3, v28, v[16:17]
	v_or_b32_e32 v28, 64, v26
	v_mad_co_u64_u32 v[15:16], null, s3, v26, v[15:16]
	v_add_co_u32 v12, vcc_lo, v27, v12
	v_mov_b32_e32 v16, v18
	s_delay_alu instid0(VALU_DEP_4)
	v_mad_co_u64_u32 v[20:21], null, s2, v28, 0
	v_or_b32_e32 v26, 0x60, v26
	s_wait_alu 0xfffd
	v_add_co_ci_u32_e32 v13, vcc_lo, v29, v13, vcc_lo
	v_mov_b32_e32 v25, v19
	v_mad_co_u64_u32 v[22:23], null, s3, v22, v[16:17]
	v_mad_co_u64_u32 v[30:31], null, s2, v26, 0
	global_store_b64 v[12:13], v[10:11], off
	v_lshlrev_b64_e32 v[11:12], 3, v[24:25]
	v_mov_b32_e32 v10, v21
	v_lshlrev_b64_e32 v[13:14], 3, v[14:15]
	v_mov_b32_e32 v18, v22
	s_delay_alu instid0(VALU_DEP_3)
	v_mad_co_u64_u32 v[21:22], null, s3, v28, v[10:11]
	v_mov_b32_e32 v10, v31
	v_add_co_u32 v11, vcc_lo, v27, v11
	s_wait_alu 0xfffd
	v_add_co_ci_u32_e32 v12, vcc_lo, v29, v12, vcc_lo
	v_add_co_u32 v13, vcc_lo, v27, v13
	s_delay_alu instid0(VALU_DEP_3) | instskip(SKIP_4) | instid1(VALU_DEP_4)
	v_mad_co_u64_u32 v[15:16], null, s3, v26, v[10:11]
	v_lshlrev_b64_e32 v[16:17], 3, v[17:18]
	v_lshlrev_b64_e32 v[18:19], 3, v[20:21]
	s_wait_alu 0xfffd
	v_add_co_ci_u32_e32 v14, vcc_lo, v29, v14, vcc_lo
	v_mov_b32_e32 v31, v15
	s_delay_alu instid0(VALU_DEP_4) | instskip(SKIP_2) | instid1(VALU_DEP_3)
	v_add_co_u32 v15, vcc_lo, v27, v16
	s_wait_alu 0xfffd
	v_add_co_ci_u32_e32 v16, vcc_lo, v29, v17, vcc_lo
	v_lshlrev_b64_e32 v[20:21], 3, v[30:31]
	v_add_co_u32 v17, vcc_lo, v27, v18
	s_wait_alu 0xfffd
	v_add_co_ci_u32_e32 v18, vcc_lo, v29, v19, vcc_lo
	s_delay_alu instid0(VALU_DEP_3)
	v_add_co_u32 v19, vcc_lo, v27, v20
	s_wait_alu 0xfffd
	v_add_co_ci_u32_e32 v20, vcc_lo, v29, v21, vcc_lo
	s_clause 0x4
	global_store_b64 v[11:12], v[2:3], off
	global_store_b64 v[13:14], v[8:9], off
	global_store_b64 v[15:16], v[6:7], off
	global_store_b64 v[17:18], v[4:5], off
	global_store_b64 v[19:20], v[0:1], off
.LBB0_12:
	s_nop 0
	s_sendmsg sendmsg(MSG_DEALLOC_VGPRS)
	s_endpgm
	.section	.rodata,"a",@progbits
	.p2align	6, 0x0
	.amdhsa_kernel fft_rtc_fwd_len128_factors_2_4_4_4_wgs_128_tpt_4_dim2_sp_ip_CI_sbcc_twdbase8_2step_dirReg
		.amdhsa_group_segment_fixed_size 0
		.amdhsa_private_segment_fixed_size 0
		.amdhsa_kernarg_size 88
		.amdhsa_user_sgpr_count 2
		.amdhsa_user_sgpr_dispatch_ptr 0
		.amdhsa_user_sgpr_queue_ptr 0
		.amdhsa_user_sgpr_kernarg_segment_ptr 1
		.amdhsa_user_sgpr_dispatch_id 0
		.amdhsa_user_sgpr_private_segment_size 0
		.amdhsa_wavefront_size32 1
		.amdhsa_uses_dynamic_stack 0
		.amdhsa_enable_private_segment 0
		.amdhsa_system_sgpr_workgroup_id_x 1
		.amdhsa_system_sgpr_workgroup_id_y 0
		.amdhsa_system_sgpr_workgroup_id_z 0
		.amdhsa_system_sgpr_workgroup_info 0
		.amdhsa_system_vgpr_workitem_id 0
		.amdhsa_next_free_vgpr 160
		.amdhsa_next_free_sgpr 21
		.amdhsa_reserve_vcc 1
		.amdhsa_float_round_mode_32 0
		.amdhsa_float_round_mode_16_64 0
		.amdhsa_float_denorm_mode_32 3
		.amdhsa_float_denorm_mode_16_64 3
		.amdhsa_fp16_overflow 0
		.amdhsa_workgroup_processor_mode 1
		.amdhsa_memory_ordered 1
		.amdhsa_forward_progress 0
		.amdhsa_round_robin_scheduling 0
		.amdhsa_exception_fp_ieee_invalid_op 0
		.amdhsa_exception_fp_denorm_src 0
		.amdhsa_exception_fp_ieee_div_zero 0
		.amdhsa_exception_fp_ieee_overflow 0
		.amdhsa_exception_fp_ieee_underflow 0
		.amdhsa_exception_fp_ieee_inexact 0
		.amdhsa_exception_int_div_zero 0
	.end_amdhsa_kernel
	.text
.Lfunc_end0:
	.size	fft_rtc_fwd_len128_factors_2_4_4_4_wgs_128_tpt_4_dim2_sp_ip_CI_sbcc_twdbase8_2step_dirReg, .Lfunc_end0-fft_rtc_fwd_len128_factors_2_4_4_4_wgs_128_tpt_4_dim2_sp_ip_CI_sbcc_twdbase8_2step_dirReg
                                        ; -- End function
	.section	.AMDGPU.csdata,"",@progbits
; Kernel info:
; codeLenInByte = 17128
; NumSgprs: 23
; NumVgprs: 160
; ScratchSize: 0
; MemoryBound: 0
; FloatMode: 240
; IeeeMode: 1
; LDSByteSize: 0 bytes/workgroup (compile time only)
; SGPRBlocks: 2
; VGPRBlocks: 19
; NumSGPRsForWavesPerEU: 23
; NumVGPRsForWavesPerEU: 160
; Occupancy: 9
; WaveLimiterHint : 1
; COMPUTE_PGM_RSRC2:SCRATCH_EN: 0
; COMPUTE_PGM_RSRC2:USER_SGPR: 2
; COMPUTE_PGM_RSRC2:TRAP_HANDLER: 0
; COMPUTE_PGM_RSRC2:TGID_X_EN: 1
; COMPUTE_PGM_RSRC2:TGID_Y_EN: 0
; COMPUTE_PGM_RSRC2:TGID_Z_EN: 0
; COMPUTE_PGM_RSRC2:TIDIG_COMP_CNT: 0
	.text
	.p2alignl 7, 3214868480
	.fill 96, 4, 3214868480
	.type	__hip_cuid_aeaea342872f80b3,@object ; @__hip_cuid_aeaea342872f80b3
	.section	.bss,"aw",@nobits
	.globl	__hip_cuid_aeaea342872f80b3
__hip_cuid_aeaea342872f80b3:
	.byte	0                               ; 0x0
	.size	__hip_cuid_aeaea342872f80b3, 1

	.ident	"AMD clang version 19.0.0git (https://github.com/RadeonOpenCompute/llvm-project roc-6.4.0 25133 c7fe45cf4b819c5991fe208aaa96edf142730f1d)"
	.section	".note.GNU-stack","",@progbits
	.addrsig
	.addrsig_sym __hip_cuid_aeaea342872f80b3
	.amdgpu_metadata
---
amdhsa.kernels:
  - .args:
      - .actual_access:  read_only
        .address_space:  global
        .offset:         0
        .size:           8
        .value_kind:     global_buffer
      - .address_space:  global
        .offset:         8
        .size:           8
        .value_kind:     global_buffer
      - .actual_access:  read_only
        .address_space:  global
        .offset:         16
        .size:           8
        .value_kind:     global_buffer
      - .actual_access:  read_only
        .address_space:  global
        .offset:         24
        .size:           8
        .value_kind:     global_buffer
      - .offset:         32
        .size:           8
        .value_kind:     by_value
      - .actual_access:  read_only
        .address_space:  global
        .offset:         40
        .size:           8
        .value_kind:     global_buffer
      - .actual_access:  read_only
        .address_space:  global
        .offset:         48
        .size:           8
        .value_kind:     global_buffer
      - .offset:         56
        .size:           4
        .value_kind:     by_value
      - .actual_access:  read_only
        .address_space:  global
        .offset:         64
        .size:           8
        .value_kind:     global_buffer
      - .actual_access:  read_only
        .address_space:  global
        .offset:         72
        .size:           8
        .value_kind:     global_buffer
      - .address_space:  global
        .offset:         80
        .size:           8
        .value_kind:     global_buffer
    .group_segment_fixed_size: 0
    .kernarg_segment_align: 8
    .kernarg_segment_size: 88
    .language:       OpenCL C
    .language_version:
      - 2
      - 0
    .max_flat_workgroup_size: 128
    .name:           fft_rtc_fwd_len128_factors_2_4_4_4_wgs_128_tpt_4_dim2_sp_ip_CI_sbcc_twdbase8_2step_dirReg
    .private_segment_fixed_size: 0
    .sgpr_count:     23
    .sgpr_spill_count: 0
    .symbol:         fft_rtc_fwd_len128_factors_2_4_4_4_wgs_128_tpt_4_dim2_sp_ip_CI_sbcc_twdbase8_2step_dirReg.kd
    .uniform_work_group_size: 1
    .uses_dynamic_stack: false
    .vgpr_count:     160
    .vgpr_spill_count: 0
    .wavefront_size: 32
    .workgroup_processor_mode: 1
amdhsa.target:   amdgcn-amd-amdhsa--gfx1201
amdhsa.version:
  - 1
  - 2
...

	.end_amdgpu_metadata
